;; amdgpu-corpus repo=ROCm/rocFFT kind=compiled arch=gfx906 opt=O3
	.text
	.amdgcn_target "amdgcn-amd-amdhsa--gfx906"
	.amdhsa_code_object_version 6
	.protected	fft_rtc_back_len3600_factors_10_10_6_6_wgs_120_tpt_120_halfLds_dp_op_CI_CI_sbrr_dirReg ; -- Begin function fft_rtc_back_len3600_factors_10_10_6_6_wgs_120_tpt_120_halfLds_dp_op_CI_CI_sbrr_dirReg
	.globl	fft_rtc_back_len3600_factors_10_10_6_6_wgs_120_tpt_120_halfLds_dp_op_CI_CI_sbrr_dirReg
	.p2align	8
	.type	fft_rtc_back_len3600_factors_10_10_6_6_wgs_120_tpt_120_halfLds_dp_op_CI_CI_sbrr_dirReg,@function
fft_rtc_back_len3600_factors_10_10_6_6_wgs_120_tpt_120_halfLds_dp_op_CI_CI_sbrr_dirReg: ; @fft_rtc_back_len3600_factors_10_10_6_6_wgs_120_tpt_120_halfLds_dp_op_CI_CI_sbrr_dirReg
; %bb.0:
	s_load_dwordx4 s[16:19], s[4:5], 0x18
	s_load_dwordx4 s[12:15], s[4:5], 0x0
	;; [unrolled: 1-line block ×3, first 2 shown]
	v_mul_u32_u24_e32 v1, 0x223, v0
	v_add_u32_sdwa v6, s6, v1 dst_sel:DWORD dst_unused:UNUSED_PAD src0_sel:DWORD src1_sel:WORD_1
	s_waitcnt lgkmcnt(0)
	s_load_dwordx2 s[20:21], s[16:17], 0x0
	s_load_dwordx2 s[2:3], s[18:19], 0x0
	v_cmp_lt_u64_e64 s[0:1], s[14:15], 2
	v_mov_b32_e32 v1, 0
	v_mov_b32_e32 v4, 0
	;; [unrolled: 1-line block ×3, first 2 shown]
	s_and_b64 vcc, exec, s[0:1]
	v_mov_b32_e32 v5, 0
	s_cbranch_vccnz .LBB0_8
; %bb.1:
	s_load_dwordx2 s[0:1], s[4:5], 0x10
	s_add_u32 s6, s18, 8
	s_addc_u32 s7, s19, 0
	s_add_u32 s22, s16, 8
	v_mov_b32_e32 v4, 0
	s_addc_u32 s23, s17, 0
	v_mov_b32_e32 v5, 0
	s_waitcnt lgkmcnt(0)
	s_add_u32 s24, s0, 8
	v_mov_b32_e32 v121, v5
	s_addc_u32 s25, s1, 0
	s_mov_b64 s[26:27], 1
	v_mov_b32_e32 v120, v4
.LBB0_2:                                ; =>This Inner Loop Header: Depth=1
	s_load_dwordx2 s[28:29], s[24:25], 0x0
                                        ; implicit-def: $vgpr122_vgpr123
	s_waitcnt lgkmcnt(0)
	v_or_b32_e32 v2, s29, v7
	v_cmp_ne_u64_e32 vcc, 0, v[1:2]
	s_and_saveexec_b64 s[0:1], vcc
	s_xor_b64 s[30:31], exec, s[0:1]
	s_cbranch_execz .LBB0_4
; %bb.3:                                ;   in Loop: Header=BB0_2 Depth=1
	v_cvt_f32_u32_e32 v2, s28
	v_cvt_f32_u32_e32 v3, s29
	s_sub_u32 s0, 0, s28
	s_subb_u32 s1, 0, s29
	v_mac_f32_e32 v2, 0x4f800000, v3
	v_rcp_f32_e32 v2, v2
	v_mul_f32_e32 v2, 0x5f7ffffc, v2
	v_mul_f32_e32 v3, 0x2f800000, v2
	v_trunc_f32_e32 v3, v3
	v_mac_f32_e32 v2, 0xcf800000, v3
	v_cvt_u32_f32_e32 v3, v3
	v_cvt_u32_f32_e32 v2, v2
	v_mul_lo_u32 v8, s0, v3
	v_mul_hi_u32 v9, s0, v2
	v_mul_lo_u32 v11, s1, v2
	v_mul_lo_u32 v10, s0, v2
	v_add_u32_e32 v8, v9, v8
	v_add_u32_e32 v8, v8, v11
	v_mul_hi_u32 v9, v2, v10
	v_mul_lo_u32 v11, v2, v8
	v_mul_hi_u32 v13, v2, v8
	v_mul_hi_u32 v12, v3, v10
	v_mul_lo_u32 v10, v3, v10
	v_mul_hi_u32 v14, v3, v8
	v_add_co_u32_e32 v9, vcc, v9, v11
	v_addc_co_u32_e32 v11, vcc, 0, v13, vcc
	v_mul_lo_u32 v8, v3, v8
	v_add_co_u32_e32 v9, vcc, v9, v10
	v_addc_co_u32_e32 v9, vcc, v11, v12, vcc
	v_addc_co_u32_e32 v10, vcc, 0, v14, vcc
	v_add_co_u32_e32 v8, vcc, v9, v8
	v_addc_co_u32_e32 v9, vcc, 0, v10, vcc
	v_add_co_u32_e32 v2, vcc, v2, v8
	v_addc_co_u32_e32 v3, vcc, v3, v9, vcc
	v_mul_lo_u32 v8, s0, v3
	v_mul_hi_u32 v9, s0, v2
	v_mul_lo_u32 v10, s1, v2
	v_mul_lo_u32 v11, s0, v2
	v_add_u32_e32 v8, v9, v8
	v_add_u32_e32 v8, v8, v10
	v_mul_lo_u32 v12, v2, v8
	v_mul_hi_u32 v13, v2, v11
	v_mul_hi_u32 v14, v2, v8
	;; [unrolled: 1-line block ×3, first 2 shown]
	v_mul_lo_u32 v11, v3, v11
	v_mul_hi_u32 v9, v3, v8
	v_add_co_u32_e32 v12, vcc, v13, v12
	v_addc_co_u32_e32 v13, vcc, 0, v14, vcc
	v_mul_lo_u32 v8, v3, v8
	v_add_co_u32_e32 v11, vcc, v12, v11
	v_addc_co_u32_e32 v10, vcc, v13, v10, vcc
	v_addc_co_u32_e32 v9, vcc, 0, v9, vcc
	v_add_co_u32_e32 v8, vcc, v10, v8
	v_addc_co_u32_e32 v9, vcc, 0, v9, vcc
	v_add_co_u32_e32 v8, vcc, v2, v8
	v_addc_co_u32_e32 v9, vcc, v3, v9, vcc
	v_mad_u64_u32 v[2:3], s[0:1], v6, v9, 0
	v_mul_hi_u32 v10, v6, v8
	v_add_co_u32_e32 v10, vcc, v10, v2
	v_addc_co_u32_e32 v11, vcc, 0, v3, vcc
	v_mad_u64_u32 v[2:3], s[0:1], v7, v8, 0
	v_mad_u64_u32 v[8:9], s[0:1], v7, v9, 0
	v_add_co_u32_e32 v2, vcc, v10, v2
	v_addc_co_u32_e32 v2, vcc, v11, v3, vcc
	v_addc_co_u32_e32 v3, vcc, 0, v9, vcc
	v_add_co_u32_e32 v8, vcc, v2, v8
	v_addc_co_u32_e32 v9, vcc, 0, v3, vcc
	v_mul_lo_u32 v10, s29, v8
	v_mul_lo_u32 v11, s28, v9
	v_mad_u64_u32 v[2:3], s[0:1], s28, v8, 0
	v_add3_u32 v3, v3, v11, v10
	v_sub_u32_e32 v10, v7, v3
	v_mov_b32_e32 v11, s29
	v_sub_co_u32_e32 v2, vcc, v6, v2
	v_subb_co_u32_e64 v10, s[0:1], v10, v11, vcc
	v_subrev_co_u32_e64 v11, s[0:1], s28, v2
	v_subbrev_co_u32_e64 v10, s[0:1], 0, v10, s[0:1]
	v_cmp_le_u32_e64 s[0:1], s29, v10
	v_cndmask_b32_e64 v12, 0, -1, s[0:1]
	v_cmp_le_u32_e64 s[0:1], s28, v11
	v_cndmask_b32_e64 v11, 0, -1, s[0:1]
	v_cmp_eq_u32_e64 s[0:1], s29, v10
	v_cndmask_b32_e64 v10, v12, v11, s[0:1]
	v_add_co_u32_e64 v11, s[0:1], 2, v8
	v_addc_co_u32_e64 v12, s[0:1], 0, v9, s[0:1]
	v_add_co_u32_e64 v13, s[0:1], 1, v8
	v_addc_co_u32_e64 v14, s[0:1], 0, v9, s[0:1]
	v_subb_co_u32_e32 v3, vcc, v7, v3, vcc
	v_cmp_ne_u32_e64 s[0:1], 0, v10
	v_cmp_le_u32_e32 vcc, s29, v3
	v_cndmask_b32_e64 v10, v14, v12, s[0:1]
	v_cndmask_b32_e64 v12, 0, -1, vcc
	v_cmp_le_u32_e32 vcc, s28, v2
	v_cndmask_b32_e64 v2, 0, -1, vcc
	v_cmp_eq_u32_e32 vcc, s29, v3
	v_cndmask_b32_e32 v2, v12, v2, vcc
	v_cmp_ne_u32_e32 vcc, 0, v2
	v_cndmask_b32_e64 v2, v13, v11, s[0:1]
	v_cndmask_b32_e32 v123, v9, v10, vcc
	v_cndmask_b32_e32 v122, v8, v2, vcc
.LBB0_4:                                ;   in Loop: Header=BB0_2 Depth=1
	s_andn2_saveexec_b64 s[0:1], s[30:31]
	s_cbranch_execz .LBB0_6
; %bb.5:                                ;   in Loop: Header=BB0_2 Depth=1
	v_cvt_f32_u32_e32 v2, s28
	s_sub_i32 s30, 0, s28
	v_mov_b32_e32 v123, v1
	v_rcp_iflag_f32_e32 v2, v2
	v_mul_f32_e32 v2, 0x4f7ffffe, v2
	v_cvt_u32_f32_e32 v2, v2
	v_mul_lo_u32 v3, s30, v2
	v_mul_hi_u32 v3, v2, v3
	v_add_u32_e32 v2, v2, v3
	v_mul_hi_u32 v2, v6, v2
	v_mul_lo_u32 v3, v2, s28
	v_add_u32_e32 v8, 1, v2
	v_sub_u32_e32 v3, v6, v3
	v_subrev_u32_e32 v9, s28, v3
	v_cmp_le_u32_e32 vcc, s28, v3
	v_cndmask_b32_e32 v3, v3, v9, vcc
	v_cndmask_b32_e32 v2, v2, v8, vcc
	v_add_u32_e32 v8, 1, v2
	v_cmp_le_u32_e32 vcc, s28, v3
	v_cndmask_b32_e32 v122, v2, v8, vcc
.LBB0_6:                                ;   in Loop: Header=BB0_2 Depth=1
	s_or_b64 exec, exec, s[0:1]
	v_mul_lo_u32 v8, v123, s28
	v_mul_lo_u32 v9, v122, s29
	v_mad_u64_u32 v[2:3], s[0:1], v122, s28, 0
	s_load_dwordx2 s[0:1], s[22:23], 0x0
	s_load_dwordx2 s[28:29], s[6:7], 0x0
	v_add3_u32 v3, v3, v9, v8
	v_sub_co_u32_e32 v2, vcc, v6, v2
	v_subb_co_u32_e32 v3, vcc, v7, v3, vcc
	s_waitcnt lgkmcnt(0)
	v_mul_lo_u32 v6, s0, v3
	v_mul_lo_u32 v7, s1, v2
	v_mad_u64_u32 v[4:5], s[0:1], s0, v2, v[4:5]
	v_mul_lo_u32 v3, s28, v3
	v_mul_lo_u32 v8, s29, v2
	v_mad_u64_u32 v[120:121], s[0:1], s28, v2, v[120:121]
	s_add_u32 s26, s26, 1
	s_addc_u32 s27, s27, 0
	s_add_u32 s6, s6, 8
	v_add3_u32 v121, v8, v121, v3
	s_addc_u32 s7, s7, 0
	v_mov_b32_e32 v2, s14
	s_add_u32 s22, s22, 8
	v_mov_b32_e32 v3, s15
	s_addc_u32 s23, s23, 0
	v_cmp_ge_u64_e32 vcc, s[26:27], v[2:3]
	s_add_u32 s24, s24, 8
	v_add3_u32 v5, v7, v5, v6
	s_addc_u32 s25, s25, 0
	s_cbranch_vccnz .LBB0_9
; %bb.7:                                ;   in Loop: Header=BB0_2 Depth=1
	v_mov_b32_e32 v6, v122
	v_mov_b32_e32 v7, v123
	s_branch .LBB0_2
.LBB0_8:
	v_mov_b32_e32 v121, v5
	v_mov_b32_e32 v123, v7
	;; [unrolled: 1-line block ×4, first 2 shown]
.LBB0_9:
	s_load_dwordx2 s[0:1], s[4:5], 0x28
	s_lshl_b64 s[14:15], s[14:15], 3
	s_add_u32 s4, s18, s14
	s_addc_u32 s5, s19, s15
                                        ; implicit-def: $vgpr124
                                        ; implicit-def: $vgpr125
                                        ; implicit-def: $vgpr127
                                        ; implicit-def: $vgpr126
                                        ; implicit-def: $vgpr128
	s_waitcnt lgkmcnt(0)
	v_cmp_gt_u64_e32 vcc, s[0:1], v[122:123]
	v_cmp_le_u64_e64 s[0:1], s[0:1], v[122:123]
	s_and_saveexec_b64 s[6:7], s[0:1]
	s_xor_b64 s[0:1], exec, s[6:7]
; %bb.10:
	s_mov_b32 s6, 0x2222223
	v_mul_hi_u32 v1, v0, s6
                                        ; implicit-def: $vgpr4_vgpr5
	v_mul_u32_u24_e32 v1, 0x78, v1
	v_sub_u32_e32 v124, v0, v1
	v_add_u32_e32 v125, 0x78, v124
	v_add_u32_e32 v127, 0xf0, v124
	;; [unrolled: 1-line block ×4, first 2 shown]
                                        ; implicit-def: $vgpr0
; %bb.11:
	s_or_saveexec_b64 s[6:7], s[0:1]
                                        ; implicit-def: $vgpr6_vgpr7
                                        ; implicit-def: $vgpr46_vgpr47
                                        ; implicit-def: $vgpr10_vgpr11
                                        ; implicit-def: $vgpr38_vgpr39
                                        ; implicit-def: $vgpr14_vgpr15
                                        ; implicit-def: $vgpr34_vgpr35
                                        ; implicit-def: $vgpr26_vgpr27
                                        ; implicit-def: $vgpr30_vgpr31
                                        ; implicit-def: $vgpr22_vgpr23
                                        ; implicit-def: $vgpr42_vgpr43
                                        ; implicit-def: $vgpr50_vgpr51
                                        ; implicit-def: $vgpr102_vgpr103
                                        ; implicit-def: $vgpr66_vgpr67
                                        ; implicit-def: $vgpr106_vgpr107
                                        ; implicit-def: $vgpr62_vgpr63
                                        ; implicit-def: $vgpr98_vgpr99
                                        ; implicit-def: $vgpr74_vgpr75
                                        ; implicit-def: $vgpr94_vgpr95
                                        ; implicit-def: $vgpr70_vgpr71
                                        ; implicit-def: $vgpr110_vgpr111
                                        ; implicit-def: $vgpr54_vgpr55
                                        ; implicit-def: $vgpr90_vgpr91
                                        ; implicit-def: $vgpr58_vgpr59
                                        ; implicit-def: $vgpr114_vgpr115
                                        ; implicit-def: $vgpr78_vgpr79
                                        ; implicit-def: $vgpr118_vgpr119
                                        ; implicit-def: $vgpr82_vgpr83
                                        ; implicit-def: $vgpr86_vgpr87
                                        ; implicit-def: $vgpr2_vgpr3
                                        ; implicit-def: $vgpr18_vgpr19
	s_xor_b64 exec, exec, s[6:7]
	s_cbranch_execz .LBB0_13
; %bb.12:
	s_add_u32 s0, s16, s14
	s_mov_b32 s14, 0x2222223
	s_addc_u32 s1, s17, s15
	v_mul_hi_u32 v1, v0, s14
	s_load_dwordx2 s[0:1], s[0:1], 0x0
	v_mul_u32_u24_e32 v1, 0x78, v1
	v_sub_u32_e32 v124, v0, v1
	s_waitcnt lgkmcnt(0)
	v_mul_lo_u32 v8, s1, v122
	v_mad_u64_u32 v[0:1], s[14:15], s20, v124, 0
	v_mul_lo_u32 v9, s0, v123
	v_mad_u64_u32 v[2:3], s[0:1], s0, v122, 0
	v_add_u32_e32 v126, 0x168, v124
	v_add_u32_e32 v13, 0x438, v124
	v_mad_u64_u32 v[6:7], s[0:1], s21, v124, v[1:2]
	v_add3_u32 v3, v3, v9, v8
	v_lshlrev_b64 v[2:3], 4, v[2:3]
	v_mov_b32_e32 v1, v6
	v_mov_b32_e32 v6, s9
	v_add_co_u32_e64 v7, s[0:1], s8, v2
	v_addc_co_u32_e64 v6, s[0:1], v6, v3, s[0:1]
	v_lshlrev_b64 v[2:3], 4, v[4:5]
	v_mad_u64_u32 v[4:5], s[0:1], s20, v126, 0
	v_add_co_u32_e64 v22, s[0:1], v7, v2
	v_mov_b32_e32 v2, v5
	v_addc_co_u32_e64 v23, s[0:1], v6, v3, s[0:1]
	v_mad_u64_u32 v[2:3], s[0:1], s21, v126, v[2:3]
	v_lshlrev_b64 v[0:1], 4, v[0:1]
	v_add_u32_e32 v15, 0x708, v124
	v_add_co_u32_e64 v6, s[0:1], v22, v0
	v_mov_b32_e32 v5, v2
	v_add_u32_e32 v2, 0x2d0, v124
	v_addc_co_u32_e64 v7, s[0:1], v23, v1, s[0:1]
	v_lshlrev_b64 v[0:1], 4, v[4:5]
	v_mad_u64_u32 v[4:5], s[0:1], s20, v2, 0
	v_add_co_u32_e64 v8, s[0:1], v22, v0
	v_mov_b32_e32 v0, v5
	v_addc_co_u32_e64 v9, s[0:1], v23, v1, s[0:1]
	v_mad_u64_u32 v[10:11], s[0:1], s21, v2, v[0:1]
	v_mad_u64_u32 v[11:12], s[0:1], s20, v13, 0
	global_load_dwordx4 v[16:19], v[6:7], off
	global_load_dwordx4 v[0:3], v[8:9], off
	v_add_u32_e32 v9, 0x5a0, v124
	v_mov_b32_e32 v6, v12
	v_mad_u64_u32 v[6:7], s[0:1], s21, v13, v[6:7]
	v_mad_u64_u32 v[13:14], s[0:1], s20, v9, 0
	v_mov_b32_e32 v5, v10
	v_lshlrev_b64 v[4:5], 4, v[4:5]
	v_mov_b32_e32 v12, v6
	v_add_co_u32_e64 v4, s[0:1], v22, v4
	v_mov_b32_e32 v8, v14
	v_addc_co_u32_e64 v5, s[0:1], v23, v5, s[0:1]
	v_lshlrev_b64 v[6:7], 4, v[11:12]
	v_mad_u64_u32 v[10:11], s[0:1], s21, v9, v[8:9]
	v_mad_u64_u32 v[11:12], s[0:1], s20, v15, 0
	v_add_co_u32_e64 v8, s[0:1], v22, v6
	v_mov_b32_e32 v14, v10
	v_mov_b32_e32 v10, v12
	v_addc_co_u32_e64 v9, s[0:1], v23, v7, s[0:1]
	v_lshlrev_b64 v[6:7], 4, v[13:14]
	v_mad_u64_u32 v[12:13], s[0:1], s21, v15, v[10:11]
	v_add_u32_e32 v15, 0x870, v124
	v_mad_u64_u32 v[13:14], s[0:1], s20, v15, 0
	v_add_co_u32_e64 v6, s[0:1], v22, v6
	v_lshlrev_b64 v[10:11], 4, v[11:12]
	v_mov_b32_e32 v12, v14
	v_addc_co_u32_e64 v7, s[0:1], v23, v7, s[0:1]
	v_mad_u64_u32 v[14:15], s[0:1], s21, v15, v[12:13]
	v_add_u32_e32 v15, 0x9d8, v124
	v_mad_u64_u32 v[20:21], s[0:1], s20, v15, 0
	v_add_co_u32_e64 v10, s[0:1], v22, v10
	v_lshlrev_b64 v[12:13], 4, v[13:14]
	v_mov_b32_e32 v14, v21
	v_addc_co_u32_e64 v11, s[0:1], v23, v11, s[0:1]
	v_mad_u64_u32 v[14:15], s[0:1], s21, v15, v[14:15]
	v_add_u32_e32 v26, 0xb40, v124
	v_mad_u64_u32 v[24:25], s[0:1], s20, v26, 0
	v_mov_b32_e32 v21, v14
	v_add_co_u32_e64 v12, s[0:1], v22, v12
	v_lshlrev_b64 v[14:15], 4, v[20:21]
	v_mov_b32_e32 v20, v25
	v_addc_co_u32_e64 v13, s[0:1], v23, v13, s[0:1]
	v_mad_u64_u32 v[20:21], s[0:1], s21, v26, v[20:21]
	v_add_u32_e32 v28, 0xca8, v124
	v_mad_u64_u32 v[26:27], s[0:1], s20, v28, 0
	v_mov_b32_e32 v25, v20
	;; [unrolled: 8-line block ×7, first 2 shown]
	v_add_co_u32_e64 v30, s[0:1], v22, v30
	v_lshlrev_b64 v[32:33], 4, v[34:35]
	v_mov_b32_e32 v34, v37
	v_addc_co_u32_e64 v31, s[0:1], v23, v31, s[0:1]
	v_mad_u64_u32 v[34:35], s[0:1], s21, v38, v[34:35]
	v_or_b32_e32 v40, 0x780, v124
	v_mad_u64_u32 v[38:39], s[0:1], s20, v40, 0
	v_mov_b32_e32 v37, v34
	v_add_co_u32_e64 v32, s[0:1], v22, v32
	v_lshlrev_b64 v[34:35], 4, v[36:37]
	v_mov_b32_e32 v36, v39
	v_addc_co_u32_e64 v33, s[0:1], v23, v33, s[0:1]
	v_mad_u64_u32 v[36:37], s[0:1], s21, v40, v[36:37]
	v_add_u32_e32 v42, 0x8e8, v124
	v_mad_u64_u32 v[40:41], s[0:1], s20, v42, 0
	v_mov_b32_e32 v39, v36
	v_add_co_u32_e64 v34, s[0:1], v22, v34
	v_lshlrev_b64 v[36:37], 4, v[38:39]
	v_mov_b32_e32 v38, v41
	v_addc_co_u32_e64 v35, s[0:1], v23, v35, s[0:1]
	v_mad_u64_u32 v[38:39], s[0:1], s21, v42, v[38:39]
	v_add_u32_e32 v44, 0xa50, v124
	v_mad_u64_u32 v[42:43], s[0:1], s20, v44, 0
	v_mov_b32_e32 v41, v38
	v_add_co_u32_e64 v36, s[0:1], v22, v36
	v_lshlrev_b64 v[38:39], 4, v[40:41]
	v_mov_b32_e32 v40, v43
	v_addc_co_u32_e64 v37, s[0:1], v23, v37, s[0:1]
	v_mad_u64_u32 v[40:41], s[0:1], s21, v44, v[40:41]
	v_add_u32_e32 v46, 0xbb8, v124
	v_mad_u64_u32 v[44:45], s[0:1], s20, v46, 0
	v_mov_b32_e32 v43, v40
	v_add_co_u32_e64 v38, s[0:1], v22, v38
	v_lshlrev_b64 v[40:41], 4, v[42:43]
	v_mov_b32_e32 v42, v45
	v_addc_co_u32_e64 v39, s[0:1], v23, v39, s[0:1]
	v_mad_u64_u32 v[42:43], s[0:1], s21, v46, v[42:43]
	v_add_u32_e32 v43, 0xd20, v124
	v_mad_u64_u32 v[46:47], s[0:1], s20, v43, 0
	v_add_co_u32_e64 v129, s[0:1], v22, v40
	v_mov_b32_e32 v45, v42
	v_mov_b32_e32 v42, v47
	v_addc_co_u32_e64 v130, s[0:1], v23, v41, s[0:1]
	v_mad_u64_u32 v[42:43], s[0:1], s21, v43, v[42:43]
	v_add_u32_e32 v127, 0xf0, v124
	v_lshlrev_b64 v[40:41], 4, v[44:45]
	v_mad_u64_u32 v[43:44], s[0:1], s20, v127, 0
	v_add_co_u32_e64 v131, s[0:1], v22, v40
	v_mov_b32_e32 v47, v42
	v_mov_b32_e32 v42, v44
	v_addc_co_u32_e64 v132, s[0:1], v23, v41, s[0:1]
	v_lshlrev_b64 v[40:41], 4, v[46:47]
	v_mad_u64_u32 v[44:45], s[0:1], s21, v127, v[42:43]
	v_add_u32_e32 v47, 0x258, v124
	v_mad_u64_u32 v[45:46], s[0:1], s20, v47, 0
	v_add_co_u32_e64 v133, s[0:1], v22, v40
	v_mov_b32_e32 v42, v46
	v_addc_co_u32_e64 v134, s[0:1], v23, v41, s[0:1]
	v_lshlrev_b64 v[40:41], 4, v[43:44]
	v_mad_u64_u32 v[42:43], s[0:1], s21, v47, v[42:43]
	v_add_u32_e32 v47, 0x3c0, v124
	v_mad_u64_u32 v[43:44], s[0:1], s20, v47, 0
	v_add_co_u32_e64 v135, s[0:1], v22, v40
	v_mov_b32_e32 v46, v42
	v_mov_b32_e32 v42, v44
	v_addc_co_u32_e64 v136, s[0:1], v23, v41, s[0:1]
	v_lshlrev_b64 v[40:41], 4, v[45:46]
	v_mad_u64_u32 v[44:45], s[0:1], s21, v47, v[42:43]
	v_add_u32_e32 v47, 0x528, v124
	v_mad_u64_u32 v[45:46], s[0:1], s20, v47, 0
	v_add_co_u32_e64 v137, s[0:1], v22, v40
	v_mov_b32_e32 v42, v46
	v_addc_co_u32_e64 v138, s[0:1], v23, v41, s[0:1]
	v_lshlrev_b64 v[40:41], 4, v[43:44]
	v_mad_u64_u32 v[42:43], s[0:1], s21, v47, v[42:43]
	v_add_u32_e32 v47, 0x690, v124
	;; [unrolled: 15-line block ×4, first 2 shown]
	v_mad_u64_u32 v[43:44], s[0:1], s20, v47, 0
	v_add_co_u32_e64 v147, s[0:1], v22, v40
	v_mov_b32_e32 v46, v42
	v_mov_b32_e32 v42, v44
	v_addc_co_u32_e64 v148, s[0:1], v23, v41, s[0:1]
	v_lshlrev_b64 v[40:41], 4, v[45:46]
	v_mad_u64_u32 v[44:45], s[0:1], s21, v47, v[42:43]
	v_add_u32_e32 v47, 0xd98, v124
	v_mad_u64_u32 v[45:46], s[0:1], s20, v47, 0
	v_add_co_u32_e64 v149, s[0:1], v22, v40
	v_mov_b32_e32 v42, v46
	v_addc_co_u32_e64 v150, s[0:1], v23, v41, s[0:1]
	v_lshlrev_b64 v[40:41], 4, v[43:44]
	v_mad_u64_u32 v[42:43], s[0:1], s21, v47, v[42:43]
	v_add_co_u32_e64 v151, s[0:1], v22, v40
	v_mov_b32_e32 v46, v42
	global_load_dwordx4 v[84:87], v[4:5], off
	global_load_dwordx4 v[80:83], v[8:9], off
	v_lshlrev_b64 v[4:5], 4, v[45:46]
	v_addc_co_u32_e64 v152, s[0:1], v23, v41, s[0:1]
	v_add_co_u32_e64 v4, s[0:1], v22, v4
	v_addc_co_u32_e64 v5, s[0:1], v23, v5, s[0:1]
	global_load_dwordx4 v[116:119], v[6:7], off
	global_load_dwordx4 v[76:79], v[10:11], off
	global_load_dwordx4 v[112:115], v[12:13], off
	global_load_dwordx4 v[56:59], v[14:15], off
	global_load_dwordx4 v[88:91], v[20:21], off
	global_load_dwordx4 v[52:55], v[24:25], off
	global_load_dwordx4 v[108:111], v[26:27], off
	global_load_dwordx4 v[68:71], v[28:29], off
	global_load_dwordx4 v[92:95], v[30:31], off
	global_load_dwordx4 v[72:75], v[32:33], off
	global_load_dwordx4 v[96:99], v[34:35], off
	global_load_dwordx4 v[60:63], v[36:37], off
                                        ; kill: killed $vgpr12 killed $vgpr13
                                        ; kill: killed $vgpr14 killed $vgpr15
                                        ; kill: killed $vgpr20 killed $vgpr21
                                        ; kill: killed $vgpr28 killed $vgpr29
                                        ; kill: killed $vgpr24 killed $vgpr25
                                        ; kill: killed $vgpr30 killed $vgpr31
                                        ; kill: killed $vgpr32 killed $vgpr33
                                        ; kill: killed $vgpr26 killed $vgpr27
                                        ; kill: killed $vgpr34 killed $vgpr35
                                        ; kill: killed $vgpr6 killed $vgpr7
                                        ; kill: killed $vgpr36 killed $vgpr37
                                        ; kill: killed $vgpr10 killed $vgpr11
	global_load_dwordx4 v[104:107], v[38:39], off
	global_load_dwordx4 v[64:67], v[129:130], off
	;; [unrolled: 1-line block ×6, first 2 shown]
                                        ; kill: killed $vgpr38 killed $vgpr39
                                        ; kill: killed $vgpr135 killed $vgpr136
                                        ; kill: killed $vgpr129 killed $vgpr130
                                        ; kill: killed $vgpr137 killed $vgpr138
                                        ; kill: killed $vgpr131 killed $vgpr132
                                        ; kill: killed $vgpr133 killed $vgpr134
	global_load_dwordx4 v[28:31], v[139:140], off
	global_load_dwordx4 v[24:27], v[141:142], off
	;; [unrolled: 1-line block ×3, first 2 shown]
                                        ; kill: killed $vgpr139 killed $vgpr140
                                        ; kill: killed $vgpr141 killed $vgpr142
                                        ; kill: killed $vgpr143 killed $vgpr144
	global_load_dwordx4 v[12:15], v[145:146], off
	global_load_dwordx4 v[36:39], v[147:148], off
                                        ; kill: killed $vgpr145 killed $vgpr146
                                        ; kill: killed $vgpr147 killed $vgpr148
	global_load_dwordx4 v[8:11], v[149:150], off
	global_load_dwordx4 v[44:47], v[151:152], off
	s_nop 0
	global_load_dwordx4 v[4:7], v[4:5], off
.LBB0_13:
	s_or_b64 exec, exec, s[6:7]
	s_waitcnt vmcnt(23)
	v_add_f64 v[131:132], v[112:113], v[116:117]
	v_add_f64 v[129:130], v[84:85], v[16:17]
	s_waitcnt vmcnt(21)
	v_add_f64 v[133:134], v[86:87], -v[90:91]
	v_add_f64 v[141:142], v[88:89], v[84:85]
	s_mov_b32 s0, 0x134454ff
	s_mov_b32 s1, 0xbfee6f0e
	v_add_f64 v[135:136], v[118:119], -v[114:115]
	v_add_f64 v[137:138], v[84:85], -v[116:117]
	v_fma_f64 v[131:132], v[131:132], -0.5, v[16:17]
	v_add_f64 v[129:130], v[116:117], v[129:130]
	v_add_f64 v[139:140], v[88:89], -v[112:113]
	v_fma_f64 v[16:17], v[141:142], -0.5, v[16:17]
	s_mov_b32 s6, 0x4755a5e
	s_mov_b32 s7, 0xbfe2cf23
	;; [unrolled: 1-line block ×4, first 2 shown]
	v_fma_f64 v[143:144], v[133:134], s[0:1], v[131:132]
	v_add_f64 v[129:130], v[112:113], v[129:130]
	v_fma_f64 v[131:132], v[133:134], s[8:9], v[131:132]
	v_add_f64 v[137:138], v[139:140], v[137:138]
	v_add_f64 v[141:142], v[114:115], v[118:119]
	s_mov_b32 s17, 0x3fe2cf23
	s_mov_b32 s16, s6
	v_add_f64 v[145:146], v[116:117], -v[84:85]
	v_fma_f64 v[139:140], v[135:136], s[6:7], v[143:144]
	v_fma_f64 v[143:144], v[135:136], s[8:9], v[16:17]
	v_add_f64 v[129:130], v[88:89], v[129:130]
	v_fma_f64 v[131:132], v[135:136], s[16:17], v[131:132]
	v_add_f64 v[147:148], v[112:113], -v[88:89]
	v_fma_f64 v[16:17], v[135:136], s[0:1], v[16:17]
	v_add_f64 v[135:136], v[86:87], v[18:19]
	v_fma_f64 v[141:142], v[141:142], -0.5, v[18:19]
	v_add_f64 v[84:85], v[84:85], -v[88:89]
	v_fma_f64 v[88:89], v[133:134], s[6:7], v[143:144]
	v_add_f64 v[143:144], v[90:91], v[86:87]
	s_mov_b32 s14, 0x372fe950
	s_mov_b32 s15, 0x3fd3c6ef
	v_fma_f64 v[139:140], v[137:138], s[14:15], v[139:140]
	v_fma_f64 v[131:132], v[137:138], s[14:15], v[131:132]
	v_add_f64 v[137:138], v[147:148], v[145:146]
	v_fma_f64 v[16:17], v[133:134], s[16:17], v[16:17]
	v_add_f64 v[133:134], v[118:119], v[135:136]
	v_fma_f64 v[135:136], v[84:85], s[8:9], v[141:142]
	v_add_f64 v[112:113], v[116:117], -v[112:113]
	v_fma_f64 v[141:142], v[84:85], s[0:1], v[141:142]
	v_fma_f64 v[18:19], v[143:144], -0.5, v[18:19]
	v_add_f64 v[116:117], v[86:87], -v[118:119]
	v_add_f64 v[145:146], v[90:91], -v[114:115]
	v_fma_f64 v[143:144], v[137:138], s[14:15], v[88:89]
	v_fma_f64 v[137:138], v[137:138], s[14:15], v[16:17]
	v_add_f64 v[16:17], v[114:115], v[133:134]
	v_fma_f64 v[88:89], v[112:113], s[16:17], v[135:136]
	v_fma_f64 v[135:136], v[112:113], s[6:7], v[141:142]
	;; [unrolled: 1-line block ×3, first 2 shown]
	v_add_f64 v[86:87], v[118:119], -v[86:87]
	v_add_f64 v[114:115], v[114:115], -v[90:91]
	v_fma_f64 v[18:19], v[112:113], s[8:9], v[18:19]
	v_add_f64 v[133:134], v[56:57], v[76:77]
	v_add_f64 v[116:117], v[145:146], v[116:117]
	v_add_f64 v[112:113], v[80:81], v[0:1]
	v_add_f64 v[145:146], v[90:91], v[16:17]
	v_fma_f64 v[16:17], v[84:85], s[16:17], v[141:142]
	v_add_f64 v[90:91], v[78:79], -v[58:59]
	v_add_f64 v[86:87], v[114:115], v[86:87]
	v_fma_f64 v[18:19], v[84:85], s[6:7], v[18:19]
	v_fma_f64 v[118:119], v[133:134], -0.5, v[0:1]
	s_waitcnt vmcnt(20)
	v_add_f64 v[133:134], v[82:83], -v[54:55]
	v_fma_f64 v[147:148], v[116:117], s[14:15], v[88:89]
	v_fma_f64 v[135:136], v[116:117], s[14:15], v[135:136]
	v_add_f64 v[84:85], v[76:77], v[112:113]
	v_add_f64 v[116:117], v[58:59], v[78:79]
	v_fma_f64 v[141:142], v[86:87], s[14:15], v[16:17]
	v_add_f64 v[16:17], v[52:53], v[80:81]
	v_fma_f64 v[149:150], v[86:87], s[14:15], v[18:19]
	;; [unrolled: 2-line block ×3, first 2 shown]
	v_add_f64 v[112:113], v[80:81], -v[76:77]
	v_add_f64 v[114:115], v[52:53], -v[56:57]
	v_add_f64 v[18:19], v[56:57], v[84:85]
	v_add_f64 v[157:158], v[78:79], -v[82:83]
	v_fma_f64 v[0:1], v[16:17], -0.5, v[0:1]
	v_fma_f64 v[16:17], v[116:117], -0.5, v[2:3]
	v_add_f64 v[116:117], v[76:77], -v[56:57]
	v_fma_f64 v[86:87], v[86:87], -0.5, v[2:3]
	v_fma_f64 v[84:85], v[90:91], s[6:7], v[88:89]
	v_add_f64 v[88:89], v[114:115], v[112:113]
	v_fma_f64 v[112:113], v[133:134], s[8:9], v[118:119]
	v_add_f64 v[114:115], v[80:81], -v[52:53]
	v_add_f64 v[18:19], v[52:53], v[18:19]
	v_add_f64 v[159:160], v[58:59], -v[54:55]
	v_add_f64 v[2:3], v[82:83], v[2:3]
	v_add_f64 v[52:53], v[56:57], -v[52:53]
	v_fma_f64 v[56:57], v[116:117], s[8:9], v[86:87]
	v_fma_f64 v[118:119], v[90:91], s[8:9], v[0:1]
	;; [unrolled: 1-line block ×3, first 2 shown]
	v_add_f64 v[76:77], v[76:77], -v[80:81]
	v_fma_f64 v[80:81], v[114:115], s[8:9], v[16:17]
	v_add_f64 v[151:152], v[82:83], -v[78:79]
	v_add_f64 v[153:154], v[54:55], -v[58:59]
	v_fma_f64 v[0:1], v[90:91], s[0:1], v[0:1]
	v_add_f64 v[90:91], v[159:160], v[157:158]
	v_add_f64 v[2:3], v[78:79], v[2:3]
	v_fma_f64 v[16:17], v[114:115], s[0:1], v[16:17]
	v_fma_f64 v[56:57], v[114:115], s[6:7], v[56:57]
	v_fma_f64 v[155:156], v[116:117], s[0:1], v[86:87]
	v_fma_f64 v[80:81], v[116:117], s[16:17], v[80:81]
	v_add_f64 v[82:83], v[153:154], v[151:152]
	v_add_f64 v[52:53], v[52:53], v[76:77]
	v_fma_f64 v[0:1], v[133:134], s[16:17], v[0:1]
	v_add_f64 v[2:3], v[58:59], v[2:3]
	v_fma_f64 v[16:17], v[116:117], s[6:7], v[16:17]
	v_fma_f64 v[56:57], v[90:91], s[14:15], v[56:57]
	;; [unrolled: 1-line block ×7, first 2 shown]
	v_add_f64 v[133:134], v[54:55], v[2:3]
	v_fma_f64 v[2:3], v[82:83], s[14:15], v[16:17]
	v_mul_f64 v[16:17], v[56:57], s[0:1]
	s_mov_b32 s19, 0xbfd3c6ef
	s_mov_b32 s18, s14
	v_fma_f64 v[86:87], v[90:91], s[14:15], v[86:87]
	v_fma_f64 v[78:79], v[52:53], s[14:15], v[78:79]
	v_mul_f64 v[52:53], v[76:77], s[6:7]
	v_mul_f64 v[56:57], v[56:57], s[18:19]
	s_mov_b32 s20, 0x9b97f4a8
	v_fma_f64 v[151:152], v[0:1], s[18:19], v[16:17]
	v_mul_f64 v[16:17], v[84:85], s[16:17]
	s_mov_b32 s21, 0x3fe9e377
	s_mov_b32 s23, 0xbfe9e377
	;; [unrolled: 1-line block ×3, first 2 shown]
	v_fma_f64 v[58:59], v[88:89], s[14:15], v[112:113]
	v_mul_f64 v[88:89], v[86:87], s[0:1]
	v_fma_f64 v[112:113], v[84:85], s[20:21], v[52:53]
	v_mul_f64 v[52:53], v[2:3], s[6:7]
	v_mul_f64 v[54:55], v[78:79], s[8:9]
	;; [unrolled: 1-line block ×3, first 2 shown]
	v_fma_f64 v[76:77], v[76:77], s[20:21], v[16:17]
	v_fma_f64 v[155:156], v[0:1], s[8:9], v[56:57]
	s_waitcnt vmcnt(17)
	v_add_f64 v[56:57], v[92:93], v[108:109]
	v_add_f64 v[80:81], v[18:19], v[129:130]
	v_fma_f64 v[114:115], v[78:79], s[14:15], v[88:89]
	v_fma_f64 v[78:79], v[58:59], s[22:23], v[52:53]
	;; [unrolled: 1-line block ×4, first 2 shown]
	v_add_f64 v[2:3], v[147:148], v[76:77]
	s_waitcnt vmcnt(13)
	v_add_f64 v[58:59], v[104:105], v[96:97]
	v_add_f64 v[86:87], v[129:130], -v[18:19]
	v_add_f64 v[129:130], v[96:97], v[56:57]
	v_add_f64 v[56:57], v[147:148], -v[76:77]
	s_waitcnt vmcnt(11)
	v_add_f64 v[76:77], v[100:101], v[92:93]
	v_add_f64 v[82:83], v[139:140], v[112:113]
	;; [unrolled: 1-line block ×6, first 2 shown]
	v_add_f64 v[116:117], v[139:140], -v[112:113]
	v_add_f64 v[118:119], v[143:144], -v[114:115]
	v_fma_f64 v[139:140], v[58:59], -0.5, v[108:109]
	v_add_f64 v[143:144], v[94:95], -v[102:103]
	v_add_f64 v[112:113], v[137:138], -v[151:152]
	;; [unrolled: 1-line block ×7, first 2 shown]
	v_fma_f64 v[108:109], v[76:77], -0.5, v[108:109]
	v_add_f64 v[84:85], v[131:132], v[78:79]
	v_add_f64 v[16:17], v[135:136], v[157:158]
	v_add_f64 v[114:115], v[131:132], -v[78:79]
	v_add_f64 v[129:130], v[104:105], v[129:130]
	v_fma_f64 v[131:132], v[143:144], s[0:1], v[139:140]
	v_fma_f64 v[139:140], v[143:144], s[8:9], v[139:140]
	v_add_f64 v[78:79], v[135:136], -v[157:158]
	v_add_f64 v[135:136], v[106:107], v[98:99]
	v_add_f64 v[137:138], v[141:142], v[137:138]
	v_fma_f64 v[141:142], v[133:134], s[8:9], v[108:109]
	v_add_f64 v[145:146], v[96:97], -v[92:93]
	v_add_f64 v[129:130], v[100:101], v[129:130]
	v_fma_f64 v[131:132], v[133:134], s[6:7], v[131:132]
	v_fma_f64 v[139:140], v[133:134], s[16:17], v[139:140]
	v_add_f64 v[147:148], v[104:105], -v[100:101]
	v_fma_f64 v[108:109], v[133:134], s[0:1], v[108:109]
	v_add_f64 v[133:134], v[94:95], v[110:111]
	v_fma_f64 v[135:136], v[135:136], -0.5, v[110:111]
	v_add_f64 v[92:93], v[92:93], -v[100:101]
	v_fma_f64 v[100:101], v[143:144], s[6:7], v[141:142]
	v_add_f64 v[141:142], v[102:103], v[94:95]
	v_fma_f64 v[131:132], v[137:138], s[14:15], v[131:132]
	v_fma_f64 v[137:138], v[137:138], s[14:15], v[139:140]
	v_add_f64 v[139:140], v[147:148], v[145:146]
	v_fma_f64 v[108:109], v[143:144], s[16:17], v[108:109]
	v_add_f64 v[133:134], v[98:99], v[133:134]
	v_fma_f64 v[143:144], v[92:93], s[8:9], v[135:136]
	v_add_f64 v[96:97], v[96:97], -v[104:105]
	v_fma_f64 v[110:111], v[141:142], -0.5, v[110:111]
	v_add_f64 v[104:105], v[94:95], -v[98:99]
	v_add_f64 v[145:146], v[102:103], -v[106:107]
	v_fma_f64 v[135:136], v[92:93], s[0:1], v[135:136]
	v_fma_f64 v[141:142], v[139:140], s[14:15], v[100:101]
	;; [unrolled: 1-line block ×3, first 2 shown]
	v_add_f64 v[100:101], v[106:107], v[133:134]
	v_fma_f64 v[133:134], v[96:97], s[16:17], v[143:144]
	v_add_f64 v[139:140], v[64:65], v[60:61]
	v_fma_f64 v[143:144], v[96:97], s[0:1], v[110:111]
	v_add_f64 v[94:95], v[98:99], -v[94:95]
	v_add_f64 v[98:99], v[106:107], -v[102:103]
	v_add_f64 v[104:105], v[145:146], v[104:105]
	v_fma_f64 v[135:136], v[96:97], s[6:7], v[135:136]
	v_fma_f64 v[96:97], v[96:97], s[8:9], v[110:111]
	v_add_f64 v[106:107], v[72:73], v[68:69]
	v_fma_f64 v[110:111], v[139:140], -0.5, v[68:69]
	s_waitcnt vmcnt(10)
	v_add_f64 v[139:140], v[74:75], -v[50:51]
	v_add_f64 v[102:103], v[102:103], v[100:101]
	v_fma_f64 v[100:101], v[92:93], s[16:17], v[143:144]
	v_add_f64 v[94:95], v[98:99], v[94:95]
	v_fma_f64 v[133:134], v[104:105], s[14:15], v[133:134]
	v_fma_f64 v[135:136], v[104:105], s[14:15], v[135:136]
	;; [unrolled: 1-line block ×3, first 2 shown]
	v_add_f64 v[96:97], v[60:61], v[106:107]
	v_fma_f64 v[98:99], v[139:140], s[0:1], v[110:111]
	v_add_f64 v[104:105], v[62:63], -v[66:67]
	v_add_f64 v[106:107], v[72:73], -v[60:61]
	;; [unrolled: 1-line block ×3, first 2 shown]
	v_fma_f64 v[145:146], v[94:95], s[14:15], v[100:101]
	v_add_f64 v[100:101], v[48:49], v[72:73]
	v_add_f64 v[147:148], v[66:67], v[62:63]
	;; [unrolled: 1-line block ×3, first 2 shown]
	v_add_f64 v[76:77], v[149:150], -v[155:156]
	v_fma_f64 v[149:150], v[94:95], s[14:15], v[92:93]
	v_add_f64 v[92:93], v[64:65], v[96:97]
	v_fma_f64 v[94:95], v[104:105], s[6:7], v[98:99]
	v_add_f64 v[96:97], v[50:51], v[74:75]
	v_add_f64 v[98:99], v[143:144], v[106:107]
	v_fma_f64 v[106:107], v[139:140], s[8:9], v[110:111]
	v_fma_f64 v[68:69], v[100:101], -0.5, v[68:69]
	v_fma_f64 v[100:101], v[147:148], -0.5, v[70:71]
	v_add_f64 v[110:111], v[72:73], -v[48:49]
	v_add_f64 v[143:144], v[48:49], v[92:93]
	v_add_f64 v[92:93], v[60:61], -v[64:65]
	v_fma_f64 v[96:97], v[96:97], -0.5, v[70:71]
	v_add_f64 v[60:61], v[60:61], -v[72:73]
	v_add_f64 v[151:152], v[74:75], -v[62:63]
	;; [unrolled: 1-line block ×4, first 2 shown]
	v_fma_f64 v[72:73], v[110:111], s[8:9], v[100:101]
	v_add_f64 v[159:160], v[66:67], -v[50:51]
	v_add_f64 v[48:49], v[64:65], -v[48:49]
	v_fma_f64 v[155:156], v[92:93], s[0:1], v[96:97]
	v_add_f64 v[64:65], v[74:75], v[70:71]
	v_fma_f64 v[74:75], v[110:111], s[0:1], v[100:101]
	v_fma_f64 v[147:148], v[104:105], s[8:9], v[68:69]
	;; [unrolled: 1-line block ×5, first 2 shown]
	v_add_f64 v[96:97], v[153:154], v[151:152]
	v_fma_f64 v[100:101], v[110:111], s[16:17], v[155:156]
	v_add_f64 v[151:152], v[159:160], v[157:158]
	v_add_f64 v[62:63], v[62:63], v[64:65]
	v_fma_f64 v[74:75], v[92:93], s[6:7], v[74:75]
	v_fma_f64 v[106:107], v[104:105], s[16:17], v[106:107]
	;; [unrolled: 1-line block ×5, first 2 shown]
	v_add_f64 v[48:49], v[48:49], v[60:61]
	v_fma_f64 v[92:93], v[151:152], s[14:15], v[100:101]
	v_fma_f64 v[60:61], v[139:140], s[16:17], v[68:69]
	v_add_f64 v[62:63], v[66:67], v[62:63]
	v_fma_f64 v[94:95], v[98:99], s[14:15], v[94:95]
	v_fma_f64 v[66:67], v[98:99], s[14:15], v[106:107]
	;; [unrolled: 1-line block ×4, first 2 shown]
	v_mul_f64 v[74:75], v[70:71], s[6:7]
	v_fma_f64 v[64:65], v[48:49], s[14:15], v[64:65]
	v_mul_f64 v[96:97], v[92:93], s[0:1]
	v_fma_f64 v[98:99], v[48:49], s[14:15], v[60:61]
	v_add_f64 v[104:105], v[50:51], v[62:63]
	v_mul_f64 v[62:63], v[94:95], s[16:17]
	v_mul_f64 v[50:51], v[68:69], s[0:1]
	;; [unrolled: 1-line block ×4, first 2 shown]
	v_fma_f64 v[74:75], v[94:95], s[20:21], v[74:75]
	v_fma_f64 v[106:107], v[64:65], s[14:15], v[96:97]
	v_mul_f64 v[68:69], v[68:69], s[18:19]
	v_add_f64 v[48:49], v[143:144], v[129:130]
	v_mul_f64 v[64:65], v[64:65], s[8:9]
	v_fma_f64 v[110:111], v[98:99], s[18:19], v[50:51]
	v_fma_f64 v[139:140], v[66:67], s[22:23], v[60:61]
	;; [unrolled: 1-line block ×3, first 2 shown]
	s_waitcnt vmcnt(3)
	v_add_f64 v[72:73], v[36:37], v[32:33]
	v_add_f64 v[50:51], v[131:132], v[74:75]
	v_fma_f64 v[147:148], v[70:71], s[20:21], v[62:63]
	v_add_f64 v[60:61], v[141:142], v[106:107]
	v_fma_f64 v[153:154], v[98:99], s[8:9], v[68:69]
	v_add_f64 v[62:63], v[108:109], v[110:111]
	v_add_f64 v[66:67], v[129:130], -v[143:144]
	v_add_f64 v[68:69], v[131:132], -v[74:75]
	;; [unrolled: 1-line block ×3, first 2 shown]
	v_add_f64 v[129:130], v[28:29], v[40:41]
	v_fma_f64 v[131:132], v[72:73], -0.5, v[40:41]
	s_waitcnt vmcnt(1)
	v_add_f64 v[141:142], v[30:31], -v[46:47]
	v_add_f64 v[72:73], v[108:109], -v[110:111]
	v_add_f64 v[108:109], v[44:45], v[28:29]
	v_fma_f64 v[151:152], v[92:93], s[14:15], v[64:65]
	v_add_f64 v[64:65], v[137:138], v[139:140]
	v_add_f64 v[92:93], v[104:105], v[102:103]
	;; [unrolled: 1-line block ×4, first 2 shown]
	v_add_f64 v[74:75], v[137:138], -v[139:140]
	v_add_f64 v[102:103], v[102:103], -v[104:105]
	;; [unrolled: 1-line block ×3, first 2 shown]
	v_add_f64 v[129:130], v[32:33], v[129:130]
	v_fma_f64 v[133:134], v[141:142], s[0:1], v[131:132]
	v_add_f64 v[137:138], v[34:35], -v[38:39]
	v_add_f64 v[139:140], v[28:29], -v[32:33]
	v_add_f64 v[143:144], v[44:45], -v[36:37]
	v_fma_f64 v[131:132], v[141:142], s[8:9], v[131:132]
	v_fma_f64 v[40:41], v[108:109], -0.5, v[40:41]
	v_add_f64 v[110:111], v[135:136], -v[155:156]
	v_add_f64 v[135:136], v[38:39], v[34:35]
	v_add_f64 v[96:97], v[145:146], v[151:152]
	v_add_f64 v[106:107], v[145:146], -v[151:152]
	v_add_f64 v[129:130], v[36:37], v[129:130]
	v_fma_f64 v[133:134], v[137:138], s[6:7], v[133:134]
	v_add_f64 v[139:140], v[143:144], v[139:140]
	v_fma_f64 v[131:132], v[137:138], s[16:17], v[131:132]
	v_fma_f64 v[143:144], v[137:138], s[8:9], v[40:41]
	v_add_f64 v[145:146], v[32:33], -v[28:29]
	v_add_f64 v[147:148], v[36:37], -v[44:45]
	v_fma_f64 v[135:136], v[135:136], -0.5, v[42:43]
	v_add_f64 v[28:29], v[28:29], -v[44:45]
	v_add_f64 v[98:99], v[149:150], v[153:154]
	v_add_f64 v[108:109], v[149:150], -v[153:154]
	v_add_f64 v[149:150], v[30:31], v[42:43]
	v_add_f64 v[44:45], v[44:45], v[129:130]
	v_fma_f64 v[129:130], v[139:140], s[14:15], v[133:134]
	v_fma_f64 v[151:152], v[139:140], s[14:15], v[131:132]
	;; [unrolled: 1-line block ×3, first 2 shown]
	v_add_f64 v[133:134], v[147:148], v[145:146]
	v_fma_f64 v[40:41], v[137:138], s[0:1], v[40:41]
	v_fma_f64 v[139:140], v[28:29], s[8:9], v[135:136]
	v_add_f64 v[32:33], v[32:33], -v[36:37]
	v_add_f64 v[36:37], v[30:31], -v[34:35]
	;; [unrolled: 1-line block ×3, first 2 shown]
	v_fma_f64 v[135:136], v[28:29], s[0:1], v[135:136]
	v_add_f64 v[145:146], v[46:47], v[30:31]
	v_add_f64 v[137:138], v[34:35], v[149:150]
	v_fma_f64 v[40:41], v[141:142], s[16:17], v[40:41]
	v_fma_f64 v[141:142], v[133:134], s[14:15], v[131:132]
	;; [unrolled: 1-line block ×3, first 2 shown]
	v_add_f64 v[131:132], v[8:9], v[12:13]
	v_add_f64 v[36:37], v[143:144], v[36:37]
	v_fma_f64 v[135:136], v[32:33], s[6:7], v[135:136]
	v_fma_f64 v[42:43], v[145:146], -0.5, v[42:43]
	v_add_f64 v[137:138], v[38:39], v[137:138]
	v_fma_f64 v[40:41], v[133:134], s[14:15], v[40:41]
	v_add_f64 v[133:134], v[24:25], v[20:21]
	v_add_f64 v[30:31], v[34:35], -v[30:31]
	v_add_f64 v[34:35], v[38:39], -v[46:47]
	v_fma_f64 v[145:146], v[36:37], s[14:15], v[139:140]
	v_fma_f64 v[36:37], v[36:37], s[14:15], v[135:136]
	;; [unrolled: 1-line block ×3, first 2 shown]
	v_add_f64 v[143:144], v[46:47], v[137:138]
	v_fma_f64 v[131:132], v[131:132], -0.5, v[20:21]
	s_waitcnt vmcnt(0)
	v_add_f64 v[137:138], v[26:27], -v[6:7]
	v_fma_f64 v[32:33], v[32:33], s[8:9], v[42:43]
	v_add_f64 v[38:39], v[12:13], v[133:134]
	v_add_f64 v[139:140], v[24:25], -v[12:13]
	v_add_f64 v[147:148], v[4:5], -v[8:9]
	v_fma_f64 v[135:136], v[28:29], s[16:17], v[135:136]
	v_add_f64 v[30:31], v[34:35], v[30:31]
	v_add_f64 v[46:47], v[14:15], -v[10:11]
	v_fma_f64 v[42:43], v[137:138], s[0:1], v[131:132]
	v_add_f64 v[133:134], v[4:5], v[24:25]
	v_add_f64 v[149:150], v[10:11], v[14:15]
	v_fma_f64 v[28:29], v[28:29], s[6:7], v[32:33]
	v_add_f64 v[32:33], v[8:9], v[38:39]
	v_add_f64 v[38:39], v[147:148], v[139:140]
	v_fma_f64 v[147:148], v[30:31], s[14:15], v[135:136]
	v_add_f64 v[135:136], v[6:7], v[26:27]
	v_fma_f64 v[34:35], v[46:47], s[6:7], v[42:43]
	v_fma_f64 v[20:21], v[133:134], -0.5, v[20:21]
	v_fma_f64 v[42:43], v[149:150], -0.5, v[22:23]
	v_add_f64 v[133:134], v[24:25], -v[4:5]
	v_add_f64 v[149:150], v[12:13], -v[8:9]
	v_fma_f64 v[28:29], v[30:31], s[14:15], v[28:29]
	v_add_f64 v[30:31], v[4:5], v[32:33]
	v_fma_f64 v[135:136], v[135:136], -0.5, v[22:23]
	v_fma_f64 v[32:33], v[38:39], s[14:15], v[34:35]
	v_add_f64 v[12:13], v[12:13], -v[24:25]
	v_add_f64 v[24:25], v[26:27], -v[14:15]
	v_fma_f64 v[34:35], v[133:134], s[8:9], v[42:43]
	v_add_f64 v[153:154], v[6:7], -v[10:11]
	v_add_f64 v[22:23], v[26:27], v[22:23]
	v_add_f64 v[26:27], v[14:15], -v[26:27]
	v_fma_f64 v[155:156], v[149:150], s[0:1], v[135:136]
	v_add_f64 v[157:158], v[10:11], -v[6:7]
	v_fma_f64 v[135:136], v[149:150], s[8:9], v[135:136]
	v_fma_f64 v[42:43], v[133:134], s[0:1], v[42:43]
	;; [unrolled: 1-line block ×4, first 2 shown]
	v_add_f64 v[24:25], v[153:154], v[24:25]
	v_add_f64 v[4:5], v[8:9], -v[4:5]
	v_fma_f64 v[131:132], v[137:138], s[8:9], v[131:132]
	v_fma_f64 v[8:9], v[46:47], s[0:1], v[20:21]
	v_add_f64 v[14:15], v[14:15], v[22:23]
	v_fma_f64 v[20:21], v[133:134], s[16:17], v[155:156]
	v_add_f64 v[22:23], v[157:158], v[26:27]
	v_fma_f64 v[26:27], v[133:134], s[6:7], v[135:136]
	v_fma_f64 v[42:43], v[149:150], s[6:7], v[42:43]
	;; [unrolled: 1-line block ×4, first 2 shown]
	v_add_f64 v[4:5], v[4:5], v[12:13]
	v_fma_f64 v[131:132], v[46:47], s[16:17], v[131:132]
	v_fma_f64 v[8:9], v[137:138], s[16:17], v[8:9]
	v_add_f64 v[10:11], v[10:11], v[14:15]
	v_fma_f64 v[14:15], v[22:23], s[14:15], v[20:21]
	v_fma_f64 v[20:21], v[22:23], s[14:15], v[26:27]
	;; [unrolled: 1-line block ×3, first 2 shown]
	v_mul_f64 v[24:25], v[34:35], s[6:7]
	v_fma_f64 v[26:27], v[4:5], s[14:15], v[139:140]
	v_fma_f64 v[12:13], v[38:39], s[14:15], v[131:132]
	;; [unrolled: 1-line block ×3, first 2 shown]
	v_add_f64 v[38:39], v[6:7], v[10:11]
	v_mul_f64 v[6:7], v[14:15], s[0:1]
	v_mul_f64 v[10:11], v[20:21], s[0:1]
	;; [unrolled: 1-line block ×3, first 2 shown]
	v_fma_f64 v[24:25], v[32:33], s[20:21], v[24:25]
	v_mul_f64 v[32:33], v[32:33], s[16:17]
	v_mul_f64 v[46:47], v[26:27], s[8:9]
	;; [unrolled: 1-line block ×4, first 2 shown]
	v_fma_f64 v[26:27], v[26:27], s[14:15], v[6:7]
	v_fma_f64 v[149:150], v[8:9], s[18:19], v[10:11]
	;; [unrolled: 1-line block ×3, first 2 shown]
	v_add_f64 v[4:5], v[30:31], v[44:45]
	v_fma_f64 v[32:33], v[34:35], s[20:21], v[32:33]
	v_fma_f64 v[34:35], v[14:15], s[14:15], v[46:47]
	;; [unrolled: 1-line block ×3, first 2 shown]
	v_add_f64 v[6:7], v[129:130], v[24:25]
	v_fma_f64 v[153:154], v[12:13], s[16:17], v[22:23]
	v_add_f64 v[8:9], v[141:142], v[26:27]
	v_add_f64 v[10:11], v[40:41], v[149:150]
	;; [unrolled: 1-line block ×3, first 2 shown]
	v_add_f64 v[14:15], v[44:45], -v[30:31]
	v_add_f64 v[131:132], v[38:39], v[143:144]
	v_add_f64 v[133:134], v[145:146], v[32:33]
	;; [unrolled: 1-line block ×4, first 2 shown]
	v_add_f64 v[20:21], v[129:130], -v[24:25]
	v_add_f64 v[22:23], v[141:142], -v[26:27]
	;; [unrolled: 1-line block ×6, first 2 shown]
	v_mul_u32_u24_e32 v28, 10, v124
	v_add_f64 v[24:25], v[40:41], -v[149:150]
	v_add_f64 v[26:27], v[151:152], -v[42:43]
	v_lshl_add_u32 v151, v28, 3, 0
	v_mul_i32_i24_e32 v28, 10, v125
	s_load_dwordx2 s[4:5], s[4:5], 0x0
	ds_write_b128 v151, v[80:83]
	ds_write_b128 v151, v[88:91] offset:16
	ds_write_b128 v151, v[84:87] offset:32
	;; [unrolled: 1-line block ×4, first 2 shown]
	v_lshl_add_u32 v118, v28, 3, 0
	v_mul_i32_i24_e32 v28, 10, v127
	s_movk_i32 s24, 0xffb8
	v_lshl_add_u32 v129, v28, 3, 0
	v_mad_i32_i24 v130, v124, s24, v151
	ds_write_b128 v118, v[48:51]
	ds_write_b128 v118, v[60:63] offset:16
	ds_write_b128 v118, v[64:67] offset:32
	;; [unrolled: 1-line block ×4, first 2 shown]
	v_add_u32_e32 v74, 0x1400, v130
	v_add_u32_e32 v75, 0x1c00, v130
	;; [unrolled: 1-line block ×8, first 2 shown]
	v_mad_i32_i24 v85, v125, s24, v118
	v_add_u32_e32 v187, 0xc00, v130
	v_add_u32_e32 v191, 0x2400, v130
	;; [unrolled: 1-line block ×5, first 2 shown]
	v_mad_i32_i24 v86, v127, s24, v129
	s_movk_i32 s24, 0xcd
	v_add_f64 v[139:140], v[36:37], v[153:154]
	v_add_f64 v[149:150], v[36:37], -v[153:154]
	ds_write_b128 v129, v[4:7]
	ds_write_b128 v129, v[8:11] offset:16
	ds_write_b128 v129, v[12:15] offset:32
	;; [unrolled: 1-line block ×4, first 2 shown]
	s_waitcnt lgkmcnt(0)
	s_barrier
	v_lshl_add_u32 v84, v126, 3, 0
	ds_read2_b64 v[64:67], v74 offset0:80 offset1:200
	ds_read2_b64 v[28:31], v75 offset0:64 offset1:184
	;; [unrolled: 1-line block ×13, first 2 shown]
	ds_read_b64 v[72:73], v130
	ds_read_b64 v[81:82], v84
	;; [unrolled: 1-line block ×4, first 2 shown]
	s_waitcnt lgkmcnt(0)
	s_barrier
	ds_write_b128 v151, v[0:3]
	ds_write_b128 v151, v[52:55] offset:16
	ds_write_b128 v151, v[16:19] offset:32
	ds_write_b128 v151, v[56:59] offset:48
	ds_write_b128 v151, v[76:79] offset:64
	ds_write_b128 v118, v[92:95]
	ds_write_b128 v118, v[96:99] offset:16
	ds_write_b128 v118, v[100:103] offset:32
	ds_write_b128 v118, v[104:107] offset:48
	ds_write_b128 v118, v[108:111] offset:64
	;; [unrolled: 5-line block ×3, first 2 shown]
	v_mul_lo_u16_sdwa v0, v124, s24 dst_sel:DWORD dst_unused:UNUSED_PAD src0_sel:BYTE_0 src1_sel:DWORD
	v_lshrrev_b16_e32 v87, 11, v0
	v_mul_lo_u16_e32 v0, 10, v87
	v_sub_u16_e32 v88, v124, v0
	v_mov_b32_e32 v0, 9
	v_mul_u32_u24_sdwa v1, v88, v0 dst_sel:DWORD dst_unused:UNUSED_PAD src0_sel:BYTE_0 src1_sel:DWORD
	v_lshlrev_b32_e32 v1, 4, v1
	s_waitcnt lgkmcnt(0)
	s_barrier
	global_load_dwordx4 v[16:19], v1, s[12:13]
	global_load_dwordx4 v[52:55], v1, s[12:13] offset:16
	global_load_dwordx4 v[56:59], v1, s[12:13] offset:32
	;; [unrolled: 1-line block ×8, first 2 shown]
	v_mul_lo_u16_sdwa v2, v125, s24 dst_sel:DWORD dst_unused:UNUSED_PAD src0_sel:BYTE_0 src1_sel:DWORD
	v_lshrrev_b16_e32 v89, 11, v2
	v_mul_lo_u16_e32 v2, 10, v89
	v_sub_u16_e32 v90, v125, v2
	v_mul_u32_u24_sdwa v0, v90, v0 dst_sel:DWORD dst_unused:UNUSED_PAD src0_sel:BYTE_0 src1_sel:DWORD
	v_lshlrev_b32_e32 v0, 4, v0
	global_load_dwordx4 v[113:116], v0, s[12:13]
	global_load_dwordx4 v[131:134], v0, s[12:13] offset:16
	global_load_dwordx4 v[135:138], v0, s[12:13] offset:32
	ds_read_b64 v[235:236], v130
	ds_read_b64 v[2:3], v84
	ds_read2_b64 v[139:142], v74 offset0:80 offset1:200
	global_load_dwordx4 v[143:146], v0, s[12:13] offset:48
	ds_read2_b64 v[147:150], v75 offset0:64 offset1:184
	ds_read2_b64 v[151:154], v83 offset0:32 offset1:152
	;; [unrolled: 1-line block ×3, first 2 shown]
	global_load_dwordx4 v[159:162], v0, s[12:13] offset:64
	ds_read2_b64 v[163:166], v117 offset0:112 offset1:232
	ds_read2_b64 v[167:170], v167 offset0:96 offset1:216
	ds_read2_b64 v[171:174], v171 offset0:64 offset1:184
	global_load_dwordx4 v[175:178], v0, s[12:13] offset:96
	global_load_dwordx4 v[179:182], v0, s[12:13] offset:80
	ds_read2_b64 v[183:186], v183 offset0:48 offset1:168
	ds_read2_b64 v[187:190], v187 offset0:96 offset1:216
	;; [unrolled: 1-line block ×4, first 2 shown]
	global_load_dwordx4 v[199:202], v0, s[12:13] offset:112
	global_load_dwordx4 v[203:206], v0, s[12:13] offset:128
	s_mov_b32 s24, 0xcccd
	v_mul_u32_u24_sdwa v0, v127, s24 dst_sel:DWORD dst_unused:UNUSED_PAD src0_sel:WORD_0 src1_sel:DWORD
	v_lshrrev_b32_e32 v91, 19, v0
	v_mul_lo_u16_e32 v0, 10, v91
	v_sub_u16_e32 v92, v127, v0
	v_mul_u32_u24_e32 v0, 9, v92
	v_lshlrev_b32_e32 v83, 4, v0
	global_load_dwordx4 v[207:210], v83, s[12:13] offset:16
	global_load_dwordx4 v[211:214], v83, s[12:13]
	ds_read_b64 v[74:75], v85
	ds_read_b64 v[0:1], v86
	global_load_dwordx4 v[215:218], v83, s[12:13] offset:48
	global_load_dwordx4 v[219:222], v83, s[12:13] offset:32
	ds_read2_b64 v[223:226], v223 offset0:80 offset1:200
	s_waitcnt vmcnt(21) lgkmcnt(14)
	v_mul_f64 v[227:228], v[2:3], v[18:19]
	v_mul_f64 v[18:19], v[81:82], v[18:19]
	s_waitcnt vmcnt(20) lgkmcnt(13)
	v_mul_f64 v[229:230], v[139:140], v[54:55]
	v_mul_f64 v[54:55], v[64:65], v[54:55]
	s_waitcnt vmcnt(19) lgkmcnt(12)
	v_mul_f64 v[231:232], v[149:150], v[58:59]
	v_fma_f64 v[81:82], v[81:82], v[16:17], v[227:228]
	v_fma_f64 v[237:238], v[2:3], v[16:17], -v[18:19]
	v_fma_f64 v[64:65], v[64:65], v[52:53], v[229:230]
	v_fma_f64 v[139:140], v[139:140], v[52:53], -v[54:55]
	v_mul_f64 v[2:3], v[30:31], v[58:59]
	global_load_dwordx4 v[52:55], v83, s[12:13] offset:80
	global_load_dwordx4 v[16:19], v83, s[12:13] offset:64
	v_fma_f64 v[239:240], v[30:31], v[56:57], v[231:232]
	s_waitcnt vmcnt(20) lgkmcnt(11)
	v_mul_f64 v[30:31], v[151:152], v[78:79]
	global_load_dwordx4 v[227:230], v83, s[12:13] offset:112
	global_load_dwordx4 v[231:234], v83, s[12:13] offset:96
	v_mul_f64 v[58:59], v[60:61], v[78:79]
	s_waitcnt vmcnt(21) lgkmcnt(10)
	v_mul_f64 v[78:79], v[157:158], v[95:96]
	v_mul_f64 v[95:96], v[26:27], v[95:96]
	v_fma_f64 v[149:150], v[149:150], v[56:57], -v[2:3]
	s_waitcnt vmcnt(20) lgkmcnt(9)
	v_mul_f64 v[2:3], v[163:164], v[99:100]
	s_waitcnt vmcnt(19) lgkmcnt(8)
	v_mul_f64 v[56:57], v[169:170], v[103:104]
	v_fma_f64 v[60:61], v[60:61], v[76:77], v[30:31]
	v_mul_f64 v[30:31], v[48:49], v[99:100]
	v_fma_f64 v[99:100], v[151:152], v[76:77], -v[58:59]
	v_fma_f64 v[151:152], v[26:27], v[93:94], v[78:79]
	v_fma_f64 v[93:94], v[157:158], v[93:94], -v[95:96]
	v_mul_f64 v[26:27], v[14:15], v[103:104]
	v_fma_f64 v[48:49], v[48:49], v[97:98], v[2:3]
	s_waitcnt vmcnt(18) lgkmcnt(7)
	v_mul_f64 v[2:3], v[171:172], v[107:108]
	s_waitcnt vmcnt(16)
	v_mul_f64 v[103:104], v[40:41], v[115:116]
	v_fma_f64 v[95:96], v[163:164], v[97:98], -v[30:31]
	v_fma_f64 v[97:98], v[14:15], v[101:102], v[56:57]
	global_load_dwordx4 v[56:59], v83, s[12:13] offset:128
	s_waitcnt lgkmcnt(6)
	v_mul_f64 v[30:31], v[185:186], v[111:112]
	v_mul_f64 v[14:15], v[44:45], v[107:108]
	v_fma_f64 v[101:102], v[169:170], v[101:102], -v[26:27]
	v_mul_f64 v[26:27], v[10:11], v[111:112]
	v_fma_f64 v[44:45], v[44:45], v[105:106], v[2:3]
	s_waitcnt lgkmcnt(5)
	v_mul_f64 v[2:3], v[187:188], v[115:116]
	v_fma_f64 v[103:104], v[187:188], v[113:114], -v[103:104]
	ds_read2_b64 v[76:79], v80 offset0:32 offset1:152
	v_fma_f64 v[107:108], v[10:11], v[109:110], v[30:31]
	s_waitcnt vmcnt(16)
	v_mul_f64 v[10:11], v[141:142], v[133:134]
	v_fma_f64 v[105:106], v[171:172], v[105:106], -v[14:15]
	v_mul_f64 v[14:15], v[66:67], v[133:134]
	v_fma_f64 v[109:110], v[185:186], v[109:110], -v[26:27]
	v_fma_f64 v[111:112], v[40:41], v[113:114], v[2:3]
	s_waitcnt vmcnt(15) lgkmcnt(5)
	v_mul_f64 v[2:3], v[191:192], v[137:138]
	v_mul_f64 v[26:27], v[36:37], v[137:138]
	s_waitcnt vmcnt(14)
	v_mul_f64 v[30:31], v[153:154], v[145:146]
	v_fma_f64 v[113:114], v[66:67], v[131:132], v[10:11]
	v_mul_f64 v[10:11], v[62:63], v[145:146]
	v_fma_f64 v[115:116], v[141:142], v[131:132], -v[14:15]
	s_waitcnt vmcnt(13) lgkmcnt(4)
	v_mul_f64 v[14:15], v[195:196], v[161:162]
	v_mul_f64 v[40:41], v[32:33], v[161:162]
	v_fma_f64 v[131:132], v[36:37], v[135:136], v[2:3]
	v_fma_f64 v[133:134], v[191:192], v[135:136], -v[26:27]
	v_fma_f64 v[135:136], v[62:63], v[143:144], v[30:31]
	s_waitcnt vmcnt(10)
	v_mul_f64 v[30:31], v[173:174], v[201:202]
	v_fma_f64 v[137:138], v[153:154], v[143:144], -v[10:11]
	v_mul_f64 v[10:11], v[50:51], v[181:182]
	v_fma_f64 v[141:142], v[32:33], v[159:160], v[14:15]
	s_waitcnt lgkmcnt(1)
	v_mul_f64 v[14:15], v[223:224], v[177:178]
	v_mul_f64 v[2:3], v[165:166], v[181:182]
	v_fma_f64 v[143:144], v[195:196], v[159:160], -v[40:41]
	v_mul_f64 v[26:27], v[20:21], v[177:178]
	s_waitcnt vmcnt(9)
	v_mul_f64 v[32:33], v[4:5], v[205:206]
	v_fma_f64 v[161:162], v[46:47], v[199:200], v[30:31]
	v_fma_f64 v[153:154], v[165:166], v[179:180], -v[10:11]
	s_waitcnt lgkmcnt(0)
	v_mul_f64 v[10:11], v[76:77], v[205:206]
	v_fma_f64 v[157:158], v[20:21], v[175:176], v[14:15]
	s_waitcnt vmcnt(7)
	v_mul_f64 v[14:15], v[189:190], v[213:214]
	s_waitcnt vmcnt(5)
	v_mul_f64 v[30:31], v[193:194], v[221:222]
	v_mul_f64 v[36:37], v[155:156], v[217:218]
	;; [unrolled: 1-line block ×3, first 2 shown]
	v_fma_f64 v[145:146], v[50:51], v[179:180], v[2:3]
	v_mul_f64 v[2:3], v[46:47], v[201:202]
	v_fma_f64 v[165:166], v[4:5], v[203:204], v[10:11]
	v_mul_f64 v[4:5], v[147:148], v[209:210]
	v_mul_f64 v[10:11], v[28:29], v[209:210]
	v_fma_f64 v[159:160], v[223:224], v[175:176], -v[26:27]
	v_fma_f64 v[169:170], v[76:77], v[203:204], -v[32:33]
	v_fma_f64 v[20:21], v[42:43], v[211:212], v[14:15]
	v_mul_f64 v[14:15], v[38:39], v[221:222]
	v_fma_f64 v[163:164], v[173:174], v[199:200], -v[2:3]
	v_mul_f64 v[2:3], v[42:43], v[213:214]
	v_fma_f64 v[32:33], v[28:29], v[207:208], v[4:5]
	v_fma_f64 v[26:27], v[147:148], v[207:208], -v[10:11]
	v_fma_f64 v[10:11], v[38:39], v[219:220], v[30:31]
	v_fma_f64 v[30:31], v[24:25], v[215:216], v[36:37]
	v_fma_f64 v[24:25], v[155:156], v[215:216], -v[40:41]
	s_waitcnt vmcnt(3)
	v_mul_f64 v[28:29], v[197:198], v[18:19]
	v_mul_f64 v[18:19], v[34:35], v[18:19]
	v_fma_f64 v[4:5], v[193:194], v[219:220], -v[14:15]
	s_waitcnt vmcnt(1)
	v_mul_f64 v[40:41], v[225:226], v[233:234]
	v_mul_f64 v[36:37], v[167:168], v[54:55]
	;; [unrolled: 1-line block ×3, first 2 shown]
	v_add_f64 v[42:43], v[60:61], v[48:49]
	v_mul_f64 v[46:47], v[22:23], v[233:234]
	v_fma_f64 v[14:15], v[34:35], v[16:17], v[28:29]
	v_fma_f64 v[16:17], v[197:198], v[16:17], -v[18:19]
	v_mul_f64 v[50:51], v[183:184], v[229:230]
	v_fma_f64 v[18:19], v[22:23], v[231:232], v[40:41]
	v_add_f64 v[22:23], v[72:73], v[64:65]
	v_fma_f64 v[34:35], v[12:13], v[52:53], v[36:37]
	v_fma_f64 v[28:29], v[167:168], v[52:53], -v[38:39]
	v_fma_f64 v[38:39], v[42:43], -0.5, v[72:73]
	v_add_f64 v[40:41], v[139:140], -v[105:106]
	v_fma_f64 v[12:13], v[225:226], v[231:232], -v[46:47]
	v_fma_f64 v[36:37], v[8:9], v[227:228], v[50:51]
	v_mul_f64 v[8:9], v[8:9], v[229:230]
	v_add_f64 v[46:47], v[64:65], v[44:45]
	s_waitcnt vmcnt(0)
	v_mul_f64 v[42:43], v[78:79], v[58:59]
	v_add_f64 v[52:53], v[22:23], v[60:61]
	v_mul_f64 v[50:51], v[6:7], v[58:59]
	v_fma_f64 v[54:55], v[40:41], s[0:1], v[38:39]
	v_add_f64 v[58:59], v[99:100], -v[95:96]
	v_add_f64 v[62:63], v[64:65], -v[60:61]
	;; [unrolled: 1-line block ×3, first 2 shown]
	v_fma_f64 v[22:23], v[183:184], v[227:228], -v[8:9]
	v_fma_f64 v[46:47], v[46:47], -0.5, v[72:73]
	v_fma_f64 v[8:9], v[6:7], v[56:57], v[42:43]
	v_add_f64 v[42:43], v[52:53], v[48:49]
	v_add_f64 v[52:53], v[99:100], v[95:96]
	v_fma_f64 v[6:7], v[78:79], v[56:57], -v[50:51]
	v_fma_f64 v[50:51], v[58:59], s[6:7], v[54:55]
	v_add_f64 v[54:55], v[62:63], v[66:67]
	v_fma_f64 v[38:39], v[40:41], s[8:9], v[38:39]
	v_fma_f64 v[56:57], v[58:59], s[8:9], v[46:47]
	v_add_f64 v[62:63], v[60:61], -v[64:65]
	v_add_f64 v[66:67], v[48:49], -v[44:45]
	v_add_f64 v[72:73], v[42:43], v[44:45]
	v_add_f64 v[42:43], v[235:236], v[139:140]
	v_fma_f64 v[52:53], v[52:53], -0.5, v[235:236]
	v_add_f64 v[44:45], v[64:65], -v[44:45]
	v_fma_f64 v[76:77], v[54:55], s[14:15], v[50:51]
	v_fma_f64 v[38:39], v[58:59], s[16:17], v[38:39]
	;; [unrolled: 1-line block ×3, first 2 shown]
	v_add_f64 v[56:57], v[62:63], v[66:67]
	v_fma_f64 v[46:47], v[58:59], s[0:1], v[46:47]
	v_add_f64 v[42:43], v[42:43], v[99:100]
	v_add_f64 v[58:59], v[139:140], v[105:106]
	v_fma_f64 v[62:63], v[44:45], s[8:9], v[52:53]
	v_add_f64 v[48:49], v[60:61], -v[48:49]
	v_add_f64 v[60:61], v[139:140], -v[99:100]
	;; [unrolled: 1-line block ×3, first 2 shown]
	v_fma_f64 v[54:55], v[54:55], s[14:15], v[38:39]
	v_fma_f64 v[38:39], v[40:41], s[16:17], v[46:47]
	v_add_f64 v[40:41], v[42:43], v[95:96]
	v_fma_f64 v[42:43], v[58:59], -0.5, v[235:236]
	v_fma_f64 v[58:59], v[56:57], s[14:15], v[50:51]
	v_fma_f64 v[50:51], v[48:49], s[16:17], v[62:63]
	;; [unrolled: 1-line block ×3, first 2 shown]
	v_add_f64 v[60:61], v[60:61], v[64:65]
	v_add_f64 v[66:67], v[95:96], -v[105:106]
	v_fma_f64 v[56:57], v[56:57], s[14:15], v[38:39]
	v_add_f64 v[62:63], v[40:41], v[105:106]
	v_fma_f64 v[38:39], v[48:49], s[0:1], v[42:43]
	v_add_f64 v[40:41], v[81:82], v[239:240]
	v_fma_f64 v[42:43], v[48:49], s[8:9], v[42:43]
	v_add_f64 v[95:96], v[239:240], -v[151:152]
	v_fma_f64 v[147:148], v[60:61], s[14:15], v[50:51]
	v_fma_f64 v[50:51], v[48:49], s[6:7], v[52:53]
	v_add_f64 v[52:53], v[99:100], -v[139:140]
	v_add_f64 v[99:100], v[107:108], -v[97:98]
	v_fma_f64 v[38:39], v[44:45], s[16:17], v[38:39]
	v_add_f64 v[40:41], v[40:41], v[151:152]
	v_add_f64 v[46:47], v[151:152], v[97:98]
	v_fma_f64 v[42:43], v[44:45], s[6:7], v[42:43]
	v_add_f64 v[44:45], v[239:240], v[107:108]
	v_fma_f64 v[105:106], v[60:61], s[14:15], v[50:51]
	v_add_f64 v[52:53], v[52:53], v[66:67]
	v_add_f64 v[50:51], v[93:94], v[101:102]
	;; [unrolled: 1-line block ×4, first 2 shown]
	v_fma_f64 v[46:47], v[46:47], -0.5, v[81:82]
	v_add_f64 v[78:79], v[93:94], -v[101:102]
	v_add_f64 v[64:65], v[149:150], -v[109:110]
	v_add_f64 v[66:67], v[151:152], -v[239:240]
	v_fma_f64 v[95:96], v[52:53], s[14:15], v[38:39]
	v_add_f64 v[38:39], v[149:150], v[109:110]
	v_fma_f64 v[99:100], v[52:53], s[14:15], v[42:43]
	v_fma_f64 v[42:43], v[44:45], -0.5, v[81:82]
	v_add_f64 v[80:81], v[40:41], v[107:108]
	v_fma_f64 v[40:41], v[50:51], -0.5, v[237:238]
	v_add_f64 v[44:45], v[239:240], -v[107:108]
	v_add_f64 v[50:51], v[151:152], -v[97:98]
	;; [unrolled: 1-line block ×3, first 2 shown]
	v_fma_f64 v[38:39], v[38:39], -0.5, v[237:238]
	v_add_f64 v[107:108], v[149:150], -v[93:94]
	v_fma_f64 v[52:53], v[78:79], s[8:9], v[42:43]
	v_add_f64 v[139:140], v[109:110], -v[101:102]
	v_add_f64 v[155:156], v[93:94], -v[149:150]
	v_fma_f64 v[97:98], v[44:45], s[8:9], v[40:41]
	v_add_f64 v[167:168], v[101:102], -v[109:110]
	v_add_f64 v[149:150], v[237:238], v[149:150]
	v_fma_f64 v[151:152], v[50:51], s[0:1], v[38:39]
	v_fma_f64 v[38:39], v[50:51], s[8:9], v[38:39]
	;; [unrolled: 1-line block ×7, first 2 shown]
	v_add_f64 v[107:108], v[107:108], v[139:140]
	v_fma_f64 v[139:140], v[44:45], s[16:17], v[151:152]
	v_add_f64 v[151:152], v[155:156], v[167:168]
	v_fma_f64 v[38:39], v[44:45], s[6:7], v[38:39]
	v_fma_f64 v[44:45], v[64:65], s[6:7], v[52:53]
	v_add_f64 v[52:53], v[149:150], v[93:94]
	v_fma_f64 v[40:41], v[50:51], s[6:7], v[40:41]
	;; [unrolled: 3-line block ×3, first 2 shown]
	v_fma_f64 v[42:43], v[64:65], s[16:17], v[42:43]
	v_fma_f64 v[64:65], v[151:152], s[14:15], v[139:140]
	;; [unrolled: 1-line block ×4, first 2 shown]
	v_add_f64 v[46:47], v[52:53], v[101:102]
	v_fma_f64 v[40:41], v[107:108], s[14:15], v[40:41]
	v_fma_f64 v[48:49], v[60:61], s[14:15], v[48:49]
	;; [unrolled: 1-line block ×3, first 2 shown]
	v_mul_f64 v[52:53], v[50:51], s[6:7]
	v_fma_f64 v[42:43], v[66:67], s[14:15], v[42:43]
	v_mul_f64 v[66:67], v[64:65], s[0:1]
	v_mul_f64 v[78:79], v[82:83], s[0:1]
	v_fma_f64 v[60:61], v[60:61], s[14:15], v[38:39]
	v_add_f64 v[93:94], v[46:47], v[109:110]
	v_mul_f64 v[46:47], v[40:41], s[6:7]
	v_mul_f64 v[50:51], v[50:51], s[20:21]
	v_fma_f64 v[97:98], v[48:49], s[20:21], v[52:53]
	v_mul_f64 v[52:53], v[64:65], s[14:15]
	v_fma_f64 v[101:102], v[44:45], s[14:15], v[66:67]
	v_fma_f64 v[107:108], v[42:43], s[18:19], v[78:79]
	v_mul_f64 v[66:67], v[82:83], s[18:19]
	v_mul_f64 v[78:79], v[40:41], s[22:23]
	v_fma_f64 v[82:83], v[60:61], s[22:23], v[46:47]
	v_add_f64 v[155:156], v[135:136], v[145:146]
	v_add_f64 v[40:41], v[76:77], v[97:98]
	v_fma_f64 v[109:110], v[48:49], s[16:17], v[50:51]
	v_add_f64 v[48:49], v[58:59], v[101:102]
	v_fma_f64 v[139:140], v[44:45], s[8:9], v[52:53]
	v_fma_f64 v[149:150], v[42:43], s[8:9], v[66:67]
	v_fma_f64 v[151:152], v[60:61], s[16:17], v[78:79]
	v_add_f64 v[66:67], v[54:55], v[82:83]
	v_add_f64 v[42:43], v[62:63], v[93:94]
	;; [unrolled: 1-line block ×3, first 2 shown]
	v_add_f64 v[76:77], v[76:77], -v[97:98]
	v_add_f64 v[78:79], v[58:59], -v[101:102]
	v_fma_f64 v[97:98], v[155:156], -0.5, v[70:71]
	v_add_f64 v[101:102], v[115:116], -v[163:164]
	v_add_f64 v[82:83], v[54:55], -v[82:83]
	;; [unrolled: 1-line block ×3, first 2 shown]
	v_add_f64 v[62:63], v[113:114], v[161:162]
	v_add_f64 v[38:39], v[72:73], v[80:81]
	;; [unrolled: 1-line block ×5, first 2 shown]
	v_add_f64 v[72:73], v[72:73], -v[80:81]
	v_add_f64 v[60:61], v[60:61], v[135:136]
	v_add_f64 v[80:81], v[56:57], -v[107:108]
	v_add_f64 v[56:57], v[147:148], -v[109:110]
	v_add_f64 v[58:59], v[95:96], -v[139:140]
	v_fma_f64 v[95:96], v[101:102], s[0:1], v[97:98]
	v_add_f64 v[107:108], v[137:138], -v[153:154]
	v_add_f64 v[109:110], v[113:114], -v[135:136]
	;; [unrolled: 1-line block ×3, first 2 shown]
	v_fma_f64 v[97:98], v[101:102], s[8:9], v[97:98]
	v_fma_f64 v[70:71], v[62:63], -0.5, v[70:71]
	v_add_f64 v[50:51], v[99:100], v[149:150]
	v_add_f64 v[52:53], v[105:106], v[151:152]
	v_add_f64 v[93:94], v[60:61], v[145:146]
	v_add_f64 v[60:61], v[99:100], -v[149:150]
	v_add_f64 v[62:63], v[105:106], -v[151:152]
	v_fma_f64 v[95:96], v[107:108], s[6:7], v[95:96]
	v_add_f64 v[99:100], v[137:138], v[153:154]
	v_add_f64 v[105:106], v[109:110], v[139:140]
	v_fma_f64 v[97:98], v[107:108], s[16:17], v[97:98]
	v_fma_f64 v[109:110], v[107:108], s[8:9], v[70:71]
	v_add_f64 v[139:140], v[135:136], -v[113:114]
	v_add_f64 v[147:148], v[145:146], -v[161:162]
	v_fma_f64 v[70:71], v[107:108], s[0:1], v[70:71]
	v_add_f64 v[107:108], v[74:75], v[115:116]
	v_fma_f64 v[99:100], v[99:100], -0.5, v[74:75]
	v_add_f64 v[113:114], v[113:114], -v[161:162]
	v_fma_f64 v[95:96], v[105:106], s[14:15], v[95:96]
	v_fma_f64 v[97:98], v[105:106], s[14:15], v[97:98]
	;; [unrolled: 1-line block ×3, first 2 shown]
	v_add_f64 v[109:110], v[139:140], v[147:148]
	v_add_f64 v[139:140], v[115:116], v[163:164]
	v_fma_f64 v[70:71], v[101:102], s[16:17], v[70:71]
	v_add_f64 v[101:102], v[107:108], v[137:138]
	v_fma_f64 v[107:108], v[113:114], s[8:9], v[99:100]
	v_add_f64 v[135:136], v[135:136], -v[145:146]
	v_add_f64 v[145:146], v[115:116], -v[137:138]
	;; [unrolled: 1-line block ×3, first 2 shown]
	v_fma_f64 v[99:100], v[113:114], s[0:1], v[99:100]
	v_fma_f64 v[74:75], v[139:140], -0.5, v[74:75]
	v_fma_f64 v[105:106], v[109:110], s[14:15], v[105:106]
	v_fma_f64 v[70:71], v[109:110], s[14:15], v[70:71]
	v_add_f64 v[109:110], v[141:142], v[157:158]
	v_fma_f64 v[107:108], v[135:136], s[16:17], v[107:108]
	v_add_f64 v[115:116], v[137:138], -v[115:116]
	v_add_f64 v[139:140], v[145:146], v[147:148]
	v_fma_f64 v[99:100], v[135:136], s[6:7], v[99:100]
	v_fma_f64 v[145:146], v[135:136], s[0:1], v[74:75]
	v_add_f64 v[137:138], v[153:154], -v[163:164]
	v_fma_f64 v[74:75], v[135:136], s[8:9], v[74:75]
	v_add_f64 v[135:136], v[111:112], v[131:132]
	v_fma_f64 v[109:110], v[109:110], -0.5, v[111:112]
	v_add_f64 v[147:148], v[133:134], -v[169:170]
	v_add_f64 v[101:102], v[101:102], v[153:154]
	v_fma_f64 v[107:108], v[139:140], s[14:15], v[107:108]
	v_fma_f64 v[145:146], v[113:114], s[16:17], v[145:146]
	v_add_f64 v[115:116], v[115:116], v[137:138]
	v_fma_f64 v[74:75], v[113:114], s[6:7], v[74:75]
	v_add_f64 v[113:114], v[135:136], v[141:142]
	v_add_f64 v[137:138], v[143:144], -v[159:160]
	v_fma_f64 v[135:136], v[147:148], s[0:1], v[109:110]
	v_fma_f64 v[99:100], v[139:140], s[14:15], v[99:100]
	v_add_f64 v[139:140], v[131:132], -v[141:142]
	v_add_f64 v[149:150], v[165:166], -v[157:158]
	v_fma_f64 v[145:146], v[115:116], s[14:15], v[145:146]
	v_add_f64 v[151:152], v[131:132], v[165:166]
	v_add_f64 v[153:154], v[143:144], v[159:160]
	v_fma_f64 v[74:75], v[115:116], s[14:15], v[74:75]
	v_fma_f64 v[115:116], v[137:138], s[6:7], v[135:136]
	v_add_f64 v[135:136], v[133:134], v[169:170]
	v_add_f64 v[93:94], v[93:94], v[161:162]
	;; [unrolled: 1-line block ×4, first 2 shown]
	v_fma_f64 v[111:112], v[151:152], -0.5, v[111:112]
	v_fma_f64 v[149:150], v[153:154], -0.5, v[103:104]
	v_add_f64 v[151:152], v[131:132], -v[165:166]
	v_add_f64 v[153:154], v[141:142], -v[157:158]
	v_fma_f64 v[135:136], v[135:136], -0.5, v[103:104]
	v_add_f64 v[131:132], v[141:142], -v[131:132]
	v_add_f64 v[161:162], v[133:134], -v[143:144]
	;; [unrolled: 1-line block ×5, first 2 shown]
	v_fma_f64 v[141:142], v[151:152], s[8:9], v[149:150]
	v_add_f64 v[113:114], v[113:114], v[157:158]
	v_fma_f64 v[167:168], v[153:154], s[0:1], v[135:136]
	v_fma_f64 v[109:110], v[147:148], s[8:9], v[109:110]
	;; [unrolled: 1-line block ×3, first 2 shown]
	v_add_f64 v[157:158], v[157:158], -v[165:166]
	v_add_f64 v[103:104], v[103:104], v[133:134]
	v_fma_f64 v[135:136], v[153:154], s[8:9], v[135:136]
	v_fma_f64 v[133:134], v[153:154], s[16:17], v[141:142]
	;; [unrolled: 1-line block ×3, first 2 shown]
	v_add_f64 v[149:150], v[161:162], v[163:164]
	v_fma_f64 v[161:162], v[151:152], s[16:17], v[167:168]
	v_add_f64 v[163:164], v[171:172], v[173:174]
	v_fma_f64 v[109:110], v[137:138], s[16:17], v[109:110]
	v_fma_f64 v[111:112], v[137:138], s[0:1], v[111:112]
	v_add_f64 v[103:104], v[103:104], v[143:144]
	v_fma_f64 v[137:138], v[147:148], s[6:7], v[155:156]
	v_fma_f64 v[135:136], v[151:152], s[6:7], v[135:136]
	;; [unrolled: 1-line block ×4, first 2 shown]
	v_add_f64 v[131:132], v[131:132], v[157:158]
	v_fma_f64 v[143:144], v[163:164], s[14:15], v[161:162]
	v_fma_f64 v[115:116], v[139:140], s[14:15], v[115:116]
	;; [unrolled: 1-line block ×3, first 2 shown]
	v_add_f64 v[103:104], v[103:104], v[159:160]
	v_fma_f64 v[109:110], v[139:140], s[14:15], v[109:110]
	v_fma_f64 v[135:136], v[163:164], s[14:15], v[135:136]
	;; [unrolled: 1-line block ×3, first 2 shown]
	v_mul_f64 v[141:142], v[133:134], s[6:7]
	v_fma_f64 v[137:138], v[131:132], s[14:15], v[137:138]
	v_mul_f64 v[147:148], v[143:144], s[0:1]
	v_mul_f64 v[133:134], v[133:134], s[20:21]
	v_add_f64 v[113:114], v[113:114], v[165:166]
	v_fma_f64 v[111:112], v[131:132], s[14:15], v[111:112]
	v_add_f64 v[103:104], v[103:104], v[169:170]
	v_mul_f64 v[149:150], v[135:136], s[0:1]
	v_mul_f64 v[151:152], v[139:140], s[6:7]
	v_fma_f64 v[141:142], v[115:116], s[20:21], v[141:142]
	v_fma_f64 v[147:148], v[137:138], s[14:15], v[147:148]
	v_mul_f64 v[143:144], v[143:144], s[14:15]
	v_fma_f64 v[115:116], v[115:116], s[16:17], v[133:134]
	v_add_f64 v[157:158], v[30:31], v[34:35]
	v_add_f64 v[131:132], v[93:94], v[113:114]
	v_mul_f64 v[135:136], v[135:136], s[18:19]
	v_mul_f64 v[139:140], v[139:140], s[22:23]
	v_fma_f64 v[149:150], v[111:112], s[18:19], v[149:150]
	v_fma_f64 v[151:152], v[109:110], s[22:23], v[151:152]
	v_add_f64 v[153:154], v[95:96], v[141:142]
	v_add_f64 v[133:134], v[105:106], v[147:148]
	v_fma_f64 v[137:138], v[137:138], s[8:9], v[143:144]
	v_add_f64 v[143:144], v[101:102], v[103:104]
	v_add_f64 v[155:156], v[107:108], v[115:116]
	v_add_f64 v[93:94], v[93:94], -v[113:114]
	v_add_f64 v[95:96], v[95:96], -v[141:142]
	;; [unrolled: 1-line block ×3, first 2 shown]
	v_add_f64 v[113:114], v[68:69], v[32:33]
	v_fma_f64 v[141:142], v[157:158], -0.5, v[68:69]
	v_add_f64 v[147:148], v[26:27], -v[22:23]
	v_add_f64 v[101:102], v[101:102], -v[103:104]
	;; [unrolled: 1-line block ×3, first 2 shown]
	v_add_f64 v[107:108], v[32:33], v[36:37]
	v_fma_f64 v[111:112], v[111:112], s[8:9], v[135:136]
	v_fma_f64 v[109:110], v[109:110], s[16:17], v[139:140]
	v_add_f64 v[135:136], v[70:71], v[149:150]
	v_add_f64 v[139:140], v[97:98], v[151:152]
	;; [unrolled: 1-line block ×3, first 2 shown]
	v_add_f64 v[70:71], v[70:71], -v[149:150]
	v_add_f64 v[97:98], v[97:98], -v[151:152]
	;; [unrolled: 1-line block ×3, first 2 shown]
	v_add_f64 v[113:114], v[113:114], v[30:31]
	v_fma_f64 v[137:138], v[147:148], s[0:1], v[141:142]
	v_add_f64 v[145:146], v[24:25], -v[28:29]
	v_add_f64 v[149:150], v[32:33], -v[30:31]
	;; [unrolled: 1-line block ×3, first 2 shown]
	v_fma_f64 v[141:142], v[147:148], s[8:9], v[141:142]
	v_fma_f64 v[68:69], v[107:108], -0.5, v[68:69]
	v_add_f64 v[161:162], v[74:75], v[111:112]
	v_add_f64 v[163:164], v[99:100], v[109:110]
	v_add_f64 v[107:108], v[74:75], -v[111:112]
	v_add_f64 v[99:100], v[99:100], -v[109:110]
	v_add_f64 v[74:75], v[113:114], v[34:35]
	v_add_f64 v[109:110], v[24:25], v[28:29]
	v_fma_f64 v[111:112], v[145:146], s[6:7], v[137:138]
	v_add_f64 v[113:114], v[149:150], v[151:152]
	v_fma_f64 v[137:138], v[145:146], s[16:17], v[141:142]
	v_fma_f64 v[141:142], v[145:146], s[8:9], v[68:69]
	v_add_f64 v[157:158], v[0:1], v[26:27]
	v_add_f64 v[149:150], v[30:31], -v[32:33]
	v_add_f64 v[151:152], v[34:35], -v[36:37]
	v_fma_f64 v[109:110], v[109:110], -0.5, v[0:1]
	v_add_f64 v[32:33], v[32:33], -v[36:37]
	v_add_f64 v[36:37], v[74:75], v[36:37]
	v_fma_f64 v[74:75], v[113:114], s[14:15], v[111:112]
	v_fma_f64 v[111:112], v[113:114], s[14:15], v[137:138]
	;; [unrolled: 1-line block ×4, first 2 shown]
	v_add_f64 v[141:142], v[157:158], v[24:25]
	v_add_f64 v[137:138], v[149:150], v[151:152]
	v_fma_f64 v[145:146], v[32:33], s[8:9], v[109:110]
	v_add_f64 v[30:31], v[30:31], -v[34:35]
	v_add_f64 v[34:35], v[26:27], -v[24:25]
	;; [unrolled: 1-line block ×3, first 2 shown]
	v_fma_f64 v[109:110], v[32:33], s[0:1], v[109:110]
	v_add_f64 v[151:152], v[26:27], v[22:23]
	v_fma_f64 v[68:69], v[147:148], s[16:17], v[68:69]
	v_add_f64 v[141:142], v[141:142], v[28:29]
	v_add_f64 v[147:148], v[14:15], v[18:19]
	v_fma_f64 v[113:114], v[137:138], s[14:15], v[113:114]
	v_fma_f64 v[145:146], v[30:31], s[16:17], v[145:146]
	v_add_f64 v[34:35], v[34:35], v[149:150]
	v_fma_f64 v[109:110], v[30:31], s[6:7], v[109:110]
	v_fma_f64 v[0:1], v[151:152], -0.5, v[0:1]
	v_fma_f64 v[68:69], v[137:138], s[14:15], v[68:69]
	v_add_f64 v[137:138], v[141:142], v[22:23]
	v_add_f64 v[141:142], v[20:21], v[10:11]
	v_fma_f64 v[147:148], v[147:148], -0.5, v[20:21]
	v_add_f64 v[149:150], v[4:5], -v[6:7]
	v_fma_f64 v[145:146], v[34:35], s[14:15], v[145:146]
	v_fma_f64 v[34:35], v[34:35], s[14:15], v[109:110]
	;; [unrolled: 1-line block ×3, first 2 shown]
	v_add_f64 v[24:25], v[24:25], -v[26:27]
	v_add_f64 v[22:23], v[28:29], -v[22:23]
	v_fma_f64 v[0:1], v[30:31], s[8:9], v[0:1]
	v_add_f64 v[26:27], v[141:142], v[14:15]
	v_fma_f64 v[28:29], v[149:150], s[0:1], v[147:148]
	v_add_f64 v[30:31], v[16:17], -v[12:13]
	v_add_f64 v[151:152], v[10:11], -v[14:15]
	;; [unrolled: 1-line block ×3, first 2 shown]
	v_fma_f64 v[2:3], v[189:190], v[211:212], -v[2:3]
	v_add_f64 v[141:142], v[10:11], v[8:9]
	v_add_f64 v[165:166], v[16:17], v[12:13]
	;; [unrolled: 1-line block ×4, first 2 shown]
	v_fma_f64 v[26:27], v[30:31], s[6:7], v[28:29]
	v_fma_f64 v[109:110], v[32:33], s[16:17], v[109:110]
	v_add_f64 v[28:29], v[151:152], v[157:158]
	v_add_f64 v[151:152], v[4:5], v[6:7]
	v_fma_f64 v[0:1], v[32:33], s[6:7], v[0:1]
	v_fma_f64 v[20:21], v[141:142], -0.5, v[20:21]
	v_fma_f64 v[32:33], v[165:166], -0.5, v[2:3]
	v_add_f64 v[141:142], v[10:11], -v[8:9]
	v_add_f64 v[165:166], v[14:15], -v[18:19]
	v_fma_f64 v[109:110], v[22:23], s[14:15], v[109:110]
	v_add_f64 v[10:11], v[14:15], -v[10:11]
	v_fma_f64 v[151:152], v[151:152], -0.5, v[2:3]
	v_fma_f64 v[0:1], v[22:23], s[14:15], v[0:1]
	v_add_f64 v[22:23], v[24:25], v[8:9]
	v_fma_f64 v[24:25], v[28:29], s[14:15], v[26:27]
	v_fma_f64 v[26:27], v[141:142], s[8:9], v[32:33]
	v_add_f64 v[14:15], v[4:5], -v[16:17]
	v_add_f64 v[167:168], v[6:7], -v[12:13]
	v_add_f64 v[2:3], v[2:3], v[4:5]
	v_fma_f64 v[169:170], v[165:166], s[0:1], v[151:152]
	v_add_f64 v[4:5], v[16:17], -v[4:5]
	v_add_f64 v[171:172], v[12:13], -v[6:7]
	v_fma_f64 v[151:152], v[165:166], s[8:9], v[151:152]
	v_fma_f64 v[147:148], v[149:150], s[8:9], v[147:148]
	;; [unrolled: 1-line block ×4, first 2 shown]
	v_add_f64 v[14:15], v[14:15], v[167:168]
	v_fma_f64 v[157:158], v[30:31], s[8:9], v[20:21]
	v_add_f64 v[8:9], v[18:19], -v[8:9]
	v_fma_f64 v[18:19], v[30:31], s[0:1], v[20:21]
	v_add_f64 v[2:3], v[2:3], v[16:17]
	v_fma_f64 v[16:17], v[141:142], s[16:17], v[169:170]
	v_add_f64 v[4:5], v[4:5], v[171:172]
	v_fma_f64 v[20:21], v[141:142], s[6:7], v[151:152]
	v_fma_f64 v[147:148], v[30:31], s[16:17], v[147:148]
	;; [unrolled: 1-line block ×5, first 2 shown]
	v_add_f64 v[8:9], v[10:11], v[8:9]
	v_fma_f64 v[10:11], v[149:150], s[16:17], v[18:19]
	v_fma_f64 v[16:17], v[4:5], s[14:15], v[16:17]
	;; [unrolled: 1-line block ×3, first 2 shown]
	v_add_f64 v[2:3], v[2:3], v[12:13]
	v_fma_f64 v[14:15], v[14:15], s[14:15], v[30:31]
	v_mul_f64 v[18:19], v[26:27], s[6:7]
	v_fma_f64 v[12:13], v[28:29], s[14:15], v[147:148]
	v_fma_f64 v[20:21], v[8:9], s[14:15], v[157:158]
	;; [unrolled: 1-line block ×3, first 2 shown]
	v_mul_f64 v[10:11], v[16:17], s[0:1]
	v_mul_f64 v[28:29], v[4:5], s[0:1]
	;; [unrolled: 1-line block ×4, first 2 shown]
	v_fma_f64 v[18:19], v[24:25], s[20:21], v[18:19]
	v_mul_f64 v[26:27], v[26:27], s[20:21]
	v_mul_f64 v[16:17], v[16:17], s[14:15]
	;; [unrolled: 1-line block ×3, first 2 shown]
	v_fma_f64 v[10:11], v[20:21], s[14:15], v[10:11]
	v_fma_f64 v[28:29], v[8:9], s[18:19], v[28:29]
	v_add_f64 v[2:3], v[2:3], v[6:7]
	v_fma_f64 v[30:31], v[12:13], s[22:23], v[30:31]
	v_fma_f64 v[4:5], v[8:9], s[8:9], v[4:5]
	v_add_f64 v[6:7], v[36:37], v[22:23]
	v_add_f64 v[32:33], v[74:75], v[18:19]
	v_fma_f64 v[24:25], v[24:25], s[16:17], v[26:27]
	v_fma_f64 v[16:17], v[20:21], s[8:9], v[16:17]
	;; [unrolled: 1-line block ×3, first 2 shown]
	v_add_f64 v[12:13], v[113:114], v[10:11]
	v_add_f64 v[14:15], v[68:69], v[28:29]
	;; [unrolled: 1-line block ×3, first 2 shown]
	v_add_f64 v[22:23], v[36:37], -v[22:23]
	v_add_f64 v[18:19], v[74:75], -v[18:19]
	v_add_f64 v[10:11], v[113:114], -v[10:11]
	v_add_f64 v[26:27], v[68:69], -v[28:29]
	v_mov_b32_e32 v68, 3
	v_add_f64 v[141:142], v[137:138], v[2:3]
	v_add_f64 v[151:152], v[0:1], v[4:5]
	v_add_f64 v[28:29], v[111:112], -v[30:31]
	v_add_f64 v[111:112], v[137:138], -v[2:3]
	;; [unrolled: 1-line block ×3, first 2 shown]
	v_mul_u32_u24_e32 v0, 0x320, v87
	v_lshlrev_b32_sdwa v1, v68, v88 dst_sel:DWORD dst_unused:UNUSED_PAD src0_sel:DWORD src1_sel:BYTE_0
	v_add3_u32 v117, 0, v0, v1
	v_mul_u32_u24_e32 v0, 0x320, v89
	v_lshlrev_b32_sdwa v1, v68, v90 dst_sel:DWORD dst_unused:UNUSED_PAD src0_sel:DWORD src1_sel:BYTE_0
	s_barrier
	ds_write2_b64 v117, v[38:39], v[40:41] offset1:10
	ds_write2_b64 v117, v[48:49], v[64:65] offset0:20 offset1:30
	ds_write2_b64 v117, v[66:67], v[72:73] offset0:40 offset1:50
	;; [unrolled: 1-line block ×4, first 2 shown]
	v_add3_u32 v73, 0, v0, v1
	v_mul_u32_u24_e32 v0, 0x320, v91
	v_lshlrev_b32_e32 v1, 3, v92
	ds_write2_b64 v73, v[131:132], v[153:154] offset1:10
	ds_write2_b64 v73, v[133:134], v[135:136] offset0:20 offset1:30
	ds_write2_b64 v73, v[139:140], v[93:94] offset0:40 offset1:50
	;; [unrolled: 1-line block ×4, first 2 shown]
	v_add3_u32 v77, 0, v0, v1
	v_add_u32_e32 v131, 0x1000, v130
	v_add_u32_e32 v74, 0x2000, v130
	;; [unrolled: 1-line block ×11, first 2 shown]
	v_lshl_add_u32 v83, v128, 3, 0
	s_movk_i32 s0, 0x64
	v_add_f64 v[147:148], v[145:146], v[24:25]
	v_add_f64 v[149:150], v[109:110], v[16:17]
	;; [unrolled: 1-line block ×3, first 2 shown]
	v_add_f64 v[113:114], v[145:146], -v[24:25]
	v_add_f64 v[109:110], v[109:110], -v[16:17]
	;; [unrolled: 1-line block ×3, first 2 shown]
	ds_write2_b64 v77, v[6:7], v[32:33] offset1:10
	ds_write2_b64 v77, v[12:13], v[14:15] offset0:20 offset1:30
	ds_write2_b64 v77, v[20:21], v[22:23] offset0:40 offset1:50
	;; [unrolled: 1-line block ×4, first 2 shown]
	s_waitcnt lgkmcnt(0)
	s_barrier
	ds_read_b64 v[40:41], v130
	ds_read2_b64 v[64:67], v131 offset0:88 offset1:208
	ds_read2_b64 v[8:11], v74 offset0:56 offset1:176
	ds_read2_b64 v[69:72], v119 offset0:8 offset1:128
	ds_read2_b64 v[0:3], v78 offset0:104 offset1:224
	ds_read2_b64 v[88:91], v132 offset0:56 offset1:176
	ds_read2_b64 v[95:98], v134 offset0:40 offset1:160
	ds_read2_b64 v[28:31], v133 offset0:88 offset1:208
	ds_read_b64 v[38:39], v85
	ds_read_b64 v[36:37], v86
	ds_read2_b64 v[24:27], v82 offset0:72 offset1:192
	ds_read2_b64 v[20:23], v87 offset0:120 offset1:240
	;; [unrolled: 1-line block ×5, first 2 shown]
	ds_read_b64 v[32:33], v83
	ds_read_b64 v[34:35], v84
	ds_read_b64 v[48:49], v130 offset:27840
	s_waitcnt lgkmcnt(0)
	s_barrier
	ds_write2_b64 v117, v[42:43], v[44:45] offset1:10
	ds_write2_b64 v117, v[46:47], v[50:51] offset0:20 offset1:30
	ds_write2_b64 v117, v[52:53], v[54:55] offset0:40 offset1:50
	ds_write2_b64 v117, v[56:57], v[58:59] offset0:60 offset1:70
	ds_write2_b64 v117, v[60:61], v[62:63] offset0:80 offset1:90
	ds_write2_b64 v73, v[143:144], v[155:156] offset1:10
	ds_write2_b64 v73, v[159:160], v[161:162] offset0:20 offset1:30
	ds_write2_b64 v73, v[163:164], v[101:102] offset0:40 offset1:50
	ds_write2_b64 v73, v[103:104], v[115:116] offset0:60 offset1:70
	ds_write2_b64 v73, v[107:108], v[99:100] offset0:80 offset1:90
	;; [unrolled: 5-line block ×3, first 2 shown]
	v_add_u32_e32 v42, 0xffffff9c, v124
	v_cmp_gt_u32_e64 s[0:1], s0, v124
	v_cndmask_b32_e64 v44, v42, v124, s[0:1]
	v_mul_i32_i24_e32 v102, 5, v44
	v_mov_b32_e32 v103, 0
	v_lshlrev_b64 v[42:43], 4, v[102:103]
	v_mov_b32_e32 v45, s13
	v_add_co_u32_e64 v42, s[0:1], s12, v42
	v_addc_co_u32_e64 v43, s[0:1], v45, v43, s[0:1]
	s_waitcnt lgkmcnt(0)
	s_barrier
	global_load_dwordx4 v[55:58], v[42:43], off offset:1440
	global_load_dwordx4 v[59:62], v[42:43], off offset:1456
	v_mov_b32_e32 v45, 41
	v_mul_lo_u16_sdwa v45, v125, v45 dst_sel:DWORD dst_unused:UNUSED_PAD src0_sel:BYTE_0 src1_sel:DWORD
	v_lshrrev_b16_e32 v45, 12, v45
	v_mul_lo_u16_e32 v46, 0x64, v45
	v_sub_u16_e32 v46, v125, v46
	v_mov_b32_e32 v47, 5
	v_mul_u32_u24_sdwa v47, v46, v47 dst_sel:DWORD dst_unused:UNUSED_PAD src0_sel:BYTE_0 src1_sel:DWORD
	v_lshlrev_b32_e32 v47, 4, v47
	global_load_dwordx4 v[99:102], v47, s[12:13] offset:1440
	global_load_dwordx4 v[104:107], v[42:43], off offset:1472
	global_load_dwordx4 v[108:111], v[42:43], off offset:1488
	global_load_dwordx4 v[112:115], v47, s[12:13] offset:1472
	global_load_dwordx4 v[135:138], v[42:43], off offset:1504
	global_load_dwordx4 v[139:142], v47, s[12:13] offset:1456
	global_load_dwordx4 v[143:146], v47, s[12:13] offset:1488
	v_lshrrev_b16_e32 v42, 2, v127
	v_mul_u32_u24_e32 v42, 0x147b, v42
	ds_read_b64 v[79:80], v130
	ds_read2_b64 v[147:150], v131 offset0:88 offset1:208
	ds_read2_b64 v[151:154], v74 offset0:56 offset1:176
	;; [unrolled: 1-line block ×3, first 2 shown]
	global_load_dwordx4 v[159:162], v47, s[12:13] offset:1504
	v_lshrrev_b32_e32 v47, 17, v42
	v_mul_lo_u16_e32 v42, 0x64, v47
	v_sub_u16_e32 v50, v127, v42
	v_mul_u32_u24_e32 v42, 5, v50
	v_lshlrev_b32_e32 v53, 4, v42
	global_load_dwordx4 v[163:166], v53, s[12:13] offset:1456
	global_load_dwordx4 v[167:170], v53, s[12:13] offset:1440
	v_lshrrev_b16_e32 v51, 2, v126
	v_mul_u32_u24_e32 v51, 0x147b, v51
	v_lshrrev_b32_e32 v51, 17, v51
	v_mul_lo_u16_e32 v52, 0x64, v51
	v_sub_u16_e32 v52, v126, v52
	ds_read2_b64 v[171:174], v78 offset0:104 offset1:224
	ds_read2_b64 v[175:178], v132 offset0:56 offset1:176
	;; [unrolled: 1-line block ×3, first 2 shown]
	global_load_dwordx4 v[183:186], v53, s[12:13] offset:1488
	global_load_dwordx4 v[187:190], v53, s[12:13] offset:1472
	ds_read2_b64 v[191:194], v133 offset0:88 offset1:208
	ds_read_b64 v[92:93], v85
	ds_read_b64 v[42:43], v86
	ds_read2_b64 v[195:198], v82 offset0:72 offset1:192
	ds_read2_b64 v[199:202], v87 offset0:120 offset1:240
	global_load_dwordx4 v[203:206], v53, s[12:13] offset:1504
	v_mul_u32_u24_e32 v53, 5, v52
	v_lshlrev_b32_e32 v53, 4, v53
	global_load_dwordx4 v[207:210], v53, s[12:13] offset:1440
	global_load_dwordx4 v[211:214], v53, s[12:13] offset:1472
	;; [unrolled: 1-line block ×3, first 2 shown]
	ds_read2_b64 v[219:222], v94 offset0:40 offset1:160
	global_load_dwordx4 v[223:226], v53, s[12:13] offset:1488
	global_load_dwordx4 v[227:230], v53, s[12:13] offset:1504
	v_lshrrev_b16_e32 v53, 2, v128
	v_mul_u32_u24_e32 v53, 0x147b, v53
	v_lshrrev_b32_e32 v53, 17, v53
	v_mul_lo_u16_e32 v54, 0x64, v53
	v_sub_u16_e32 v54, v128, v54
	v_mul_u32_u24_e32 v63, 5, v54
	v_lshlrev_b32_e32 v73, 4, v63
	global_load_dwordx4 v[231:234], v73, s[12:13] offset:1456
	global_load_dwordx4 v[235:238], v73, s[12:13] offset:1440
	ds_read2_b64 v[239:242], v75 offset0:24 offset1:144
	s_mov_b32 s6, 0xe8584caa
	s_mov_b32 s7, 0xbfebb67a
	;; [unrolled: 1-line block ×4, first 2 shown]
	s_movk_i32 s0, 0x63
	v_cmp_lt_u32_e64 s[0:1], s0, v124
	s_movk_i32 s14, 0x2000
	s_waitcnt vmcnt(21) lgkmcnt(12)
	v_mul_f64 v[116:117], v[147:148], v[57:58]
	v_mul_f64 v[57:58], v[64:65], v[57:58]
	s_waitcnt vmcnt(20) lgkmcnt(11)
	v_mul_f64 v[243:244], v[153:154], v[61:62]
	v_mul_f64 v[61:62], v[10:11], v[61:62]
	s_waitcnt vmcnt(17) lgkmcnt(9)
	v_mul_f64 v[247:248], v[173:174], v[110:111]
	v_fma_f64 v[116:117], v[64:65], v[55:56], v[116:117]
	v_mul_f64 v[63:64], v[149:150], v[101:102]
	v_fma_f64 v[147:148], v[147:148], v[55:56], -v[57:58]
	v_fma_f64 v[10:11], v[10:11], v[59:60], v[243:244]
	v_fma_f64 v[153:154], v[153:154], v[59:60], -v[61:62]
	global_load_dwordx4 v[55:58], v73, s[12:13] offset:1488
	global_load_dwordx4 v[59:62], v73, s[12:13] offset:1472
	v_mul_f64 v[101:102], v[66:67], v[101:102]
	v_mul_f64 v[243:244], v[155:156], v[106:107]
	;; [unrolled: 1-line block ×3, first 2 shown]
	v_fma_f64 v[245:246], v[66:67], v[99:100], v[63:64]
	global_load_dwordx4 v[63:66], v73, s[12:13] offset:1504
	v_mul_f64 v[110:111], v[2:3], v[110:111]
	s_waitcnt vmcnt(19)
	v_mul_f64 v[249:250], v[157:158], v[114:115]
	v_fma_f64 v[2:3], v[2:3], v[108:109], v[247:248]
	v_fma_f64 v[149:150], v[149:150], v[99:100], -v[101:102]
	v_fma_f64 v[69:70], v[69:70], v[104:105], v[243:244]
	v_fma_f64 v[104:105], v[155:156], v[104:105], -v[106:107]
	v_mul_f64 v[106:107], v[71:72], v[114:115]
	s_waitcnt vmcnt(18)
	v_mul_f64 v[114:115], v[88:89], v[137:138]
	v_fma_f64 v[108:109], v[173:174], v[108:109], -v[110:111]
	s_waitcnt lgkmcnt(8)
	v_mul_f64 v[110:111], v[175:176], v[137:138]
	v_fma_f64 v[71:72], v[71:72], v[112:113], v[249:250]
	s_waitcnt vmcnt(17) lgkmcnt(7)
	v_mul_f64 v[137:138], v[179:180], v[141:142]
	v_mul_f64 v[141:142], v[95:96], v[141:142]
	ds_read2_b64 v[99:102], v76 offset0:72 offset1:192
	v_fma_f64 v[106:107], v[157:158], v[112:113], -v[106:107]
	s_waitcnt vmcnt(16) lgkmcnt(7)
	v_mul_f64 v[112:113], v[191:192], v[145:146]
	v_mul_f64 v[145:146], v[28:29], v[145:146]
	v_fma_f64 v[88:89], v[88:89], v[135:136], v[110:111]
	v_fma_f64 v[110:111], v[175:176], v[135:136], -v[114:115]
	s_waitcnt vmcnt(15)
	v_mul_f64 v[114:115], v[177:178], v[161:162]
	v_fma_f64 v[95:96], v[95:96], v[139:140], v[137:138]
	v_fma_f64 v[135:136], v[179:180], v[139:140], -v[141:142]
	s_waitcnt vmcnt(13) lgkmcnt(4)
	v_mul_f64 v[139:140], v[195:196], v[169:170]
	v_fma_f64 v[28:29], v[28:29], v[143:144], v[112:113]
	v_mul_f64 v[112:113], v[90:91], v[161:162]
	v_mul_f64 v[141:142], v[24:25], v[169:170]
	v_fma_f64 v[137:138], v[191:192], v[143:144], -v[145:146]
	v_fma_f64 v[90:91], v[90:91], v[159:160], v[114:115]
	v_mul_f64 v[114:115], v[181:182], v[165:166]
	v_mul_f64 v[143:144], v[97:98], v[165:166]
	s_waitcnt vmcnt(11) lgkmcnt(3)
	v_mul_f64 v[145:146], v[199:200], v[189:190]
	v_fma_f64 v[24:25], v[24:25], v[167:168], v[139:140]
	v_fma_f64 v[112:113], v[177:178], v[159:160], -v[112:113]
	v_mul_f64 v[159:160], v[20:21], v[189:190]
	v_fma_f64 v[139:140], v[195:196], v[167:168], -v[141:142]
	s_waitcnt vmcnt(7) lgkmcnt(1)
	v_mul_f64 v[165:166], v[239:240], v[217:218]
	v_mul_f64 v[167:168], v[12:13], v[217:218]
	;; [unrolled: 1-line block ×3, first 2 shown]
	v_fma_f64 v[20:21], v[20:21], v[187:188], v[145:146]
	v_mul_f64 v[161:162], v[16:17], v[205:206]
	v_fma_f64 v[97:98], v[97:98], v[163:164], v[114:115]
	v_fma_f64 v[145:146], v[199:200], v[187:188], -v[159:160]
	v_mul_f64 v[159:160], v[219:220], v[205:206]
	v_fma_f64 v[12:13], v[12:13], v[215:216], v[165:166]
	v_fma_f64 v[165:166], v[239:240], v[215:216], -v[167:168]
	s_waitcnt vmcnt(6) lgkmcnt(0)
	v_mul_f64 v[167:168], v[99:100], v[225:226]
	v_fma_f64 v[114:115], v[181:182], v[163:164], -v[143:144]
	v_mul_f64 v[143:144], v[30:31], v[185:186]
	v_fma_f64 v[30:31], v[30:31], v[183:184], v[141:142]
	v_mul_f64 v[141:142], v[197:198], v[209:210]
	v_mul_f64 v[163:164], v[26:27], v[209:210]
	v_fma_f64 v[16:17], v[16:17], v[203:204], v[159:160]
	v_fma_f64 v[159:160], v[219:220], v[203:204], -v[161:162]
	v_mul_f64 v[161:162], v[201:202], v[213:214]
	v_mul_f64 v[169:170], v[4:5], v[225:226]
	v_fma_f64 v[4:5], v[4:5], v[223:224], v[167:168]
	s_waitcnt vmcnt(4)
	v_mul_f64 v[167:168], v[241:242], v[233:234]
	v_fma_f64 v[26:27], v[26:27], v[207:208], v[141:142]
	v_fma_f64 v[141:142], v[197:198], v[207:208], -v[163:164]
	v_mul_f64 v[163:164], v[22:23], v[213:214]
	v_mul_f64 v[175:176], v[18:19], v[229:230]
	v_fma_f64 v[22:23], v[22:23], v[211:212], v[161:162]
	v_mul_f64 v[161:162], v[221:222], v[229:230]
	s_waitcnt vmcnt(3)
	v_mul_f64 v[177:178], v[151:152], v[237:238]
	v_mul_f64 v[179:180], v[8:9], v[237:238]
	v_fma_f64 v[99:100], v[99:100], v[223:224], -v[169:170]
	v_mul_f64 v[169:170], v[14:15], v[233:234]
	v_fma_f64 v[14:15], v[14:15], v[231:232], v[167:168]
	ds_read_b64 v[155:156], v83
	ds_read_b64 v[157:158], v84
	ds_read_b64 v[173:174], v130 offset:27840
	v_fma_f64 v[143:144], v[193:194], v[183:184], -v[143:144]
	v_fma_f64 v[18:19], v[18:19], v[227:228], v[161:162]
	v_fma_f64 v[161:162], v[221:222], v[227:228], -v[175:176]
	v_fma_f64 v[8:9], v[8:9], v[235:236], v[177:178]
	s_waitcnt vmcnt(2)
	v_mul_f64 v[167:168], v[101:102], v[57:58]
	v_mul_f64 v[57:58], v[6:7], v[57:58]
	v_fma_f64 v[151:152], v[151:152], v[235:236], -v[179:180]
	s_waitcnt vmcnt(1)
	v_mul_f64 v[175:176], v[171:172], v[61:62]
	v_mul_f64 v[61:62], v[0:1], v[61:62]
	v_add_f64 v[179:180], v[10:11], v[2:3]
	s_waitcnt vmcnt(0) lgkmcnt(0)
	v_mul_f64 v[177:178], v[173:174], v[65:66]
	v_fma_f64 v[163:164], v[201:202], v[211:212], -v[163:164]
	v_fma_f64 v[6:7], v[6:7], v[55:56], v[167:168]
	v_fma_f64 v[55:56], v[101:102], v[55:56], -v[57:58]
	v_add_f64 v[101:102], v[104:105], v[110:111]
	v_fma_f64 v[0:1], v[0:1], v[59:60], v[175:176]
	v_fma_f64 v[59:60], v[171:172], v[59:60], -v[61:62]
	v_add_f64 v[61:62], v[40:41], v[10:11]
	v_fma_f64 v[57:58], v[48:49], v[63:64], v[177:178]
	v_fma_f64 v[40:41], v[179:180], -0.5, v[40:41]
	v_add_f64 v[167:168], v[153:154], -v[108:109]
	v_mul_f64 v[48:49], v[48:49], v[65:66]
	v_add_f64 v[65:66], v[69:70], v[88:89]
	v_fma_f64 v[101:102], v[101:102], -0.5, v[147:148]
	v_add_f64 v[171:172], v[69:70], -v[88:89]
	v_add_f64 v[61:62], v[61:62], v[2:3]
	v_add_f64 v[179:180], v[104:105], -v[110:111]
	v_add_f64 v[2:3], v[10:11], -v[2:3]
	v_fma_f64 v[175:176], v[167:168], s[6:7], v[40:41]
	v_fma_f64 v[40:41], v[167:168], s[8:9], v[40:41]
	v_fma_f64 v[65:66], v[65:66], -0.5, v[116:117]
	v_add_f64 v[10:11], v[116:117], v[69:70]
	v_fma_f64 v[167:168], v[171:172], s[8:9], v[101:102]
	v_fma_f64 v[101:102], v[171:172], s[6:7], v[101:102]
	v_add_f64 v[177:178], v[153:154], v[108:109]
	v_add_f64 v[153:154], v[79:80], v[153:154]
	;; [unrolled: 1-line block ×3, first 2 shown]
	v_fma_f64 v[48:49], v[173:174], v[63:64], -v[48:49]
	v_fma_f64 v[69:70], v[179:180], s[6:7], v[65:66]
	v_fma_f64 v[65:66], v[179:180], s[8:9], v[65:66]
	v_mul_f64 v[116:117], v[167:168], s[6:7]
	v_mul_f64 v[171:172], v[101:102], s[6:7]
	v_add_f64 v[10:11], v[10:11], v[88:89]
	v_fma_f64 v[79:80], v[177:178], -0.5, v[79:80]
	v_add_f64 v[108:109], v[153:154], v[108:109]
	v_mul_f64 v[147:148], v[167:168], 0.5
	v_mul_f64 v[101:102], v[101:102], -0.5
	v_add_f64 v[104:105], v[104:105], v[110:111]
	v_fma_f64 v[88:89], v[69:70], 0.5, v[116:117]
	v_fma_f64 v[116:117], v[65:66], -0.5, v[171:172]
	v_add_f64 v[63:64], v[61:62], v[10:11]
	v_add_f64 v[110:111], v[95:96], v[28:29]
	v_add_f64 v[10:11], v[61:62], -v[10:11]
	v_add_f64 v[61:62], v[106:107], v[112:113]
	v_fma_f64 v[153:154], v[2:3], s[8:9], v[79:80]
	v_fma_f64 v[69:70], v[69:70], s[8:9], v[147:148]
	;; [unrolled: 1-line block ×3, first 2 shown]
	v_add_f64 v[101:102], v[40:41], v[116:117]
	v_add_f64 v[147:148], v[108:109], v[104:105]
	v_add_f64 v[40:41], v[40:41], -v[116:117]
	v_add_f64 v[116:117], v[38:39], v[95:96]
	v_fma_f64 v[38:39], v[110:111], -0.5, v[38:39]
	v_add_f64 v[110:111], v[135:136], -v[137:138]
	v_add_f64 v[173:174], v[71:72], v[90:91]
	v_add_f64 v[108:109], v[108:109], -v[104:105]
	v_fma_f64 v[61:62], v[61:62], -0.5, v[149:150]
	v_add_f64 v[104:105], v[71:72], -v[90:91]
	v_fma_f64 v[2:3], v[2:3], s[6:7], v[79:80]
	v_add_f64 v[79:80], v[175:176], v[88:89]
	v_add_f64 v[167:168], v[153:154], v[69:70]
	v_add_f64 v[88:89], v[175:176], -v[88:89]
	v_add_f64 v[153:154], v[153:154], -v[69:70]
	v_add_f64 v[69:70], v[116:117], v[28:29]
	v_add_f64 v[116:117], v[135:136], v[137:138]
	v_fma_f64 v[175:176], v[110:111], s[6:7], v[38:39]
	v_fma_f64 v[173:174], v[173:174], -0.5, v[245:246]
	v_add_f64 v[177:178], v[106:107], -v[112:113]
	v_fma_f64 v[38:39], v[110:111], s[8:9], v[38:39]
	v_fma_f64 v[110:111], v[104:105], s[8:9], v[61:62]
	;; [unrolled: 1-line block ×3, first 2 shown]
	v_add_f64 v[71:72], v[245:246], v[71:72]
	v_add_f64 v[104:105], v[92:93], v[135:136]
	v_fma_f64 v[92:93], v[116:117], -0.5, v[92:93]
	v_add_f64 v[28:29], v[95:96], -v[28:29]
	v_fma_f64 v[95:96], v[177:178], s[6:7], v[173:174]
	v_fma_f64 v[116:117], v[177:178], s[8:9], v[173:174]
	v_mul_f64 v[135:136], v[110:111], s[6:7]
	v_mul_f64 v[173:174], v[61:62], s[6:7]
	v_add_f64 v[106:107], v[149:150], v[106:107]
	v_mul_f64 v[110:111], v[110:111], 0.5
	v_add_f64 v[71:72], v[71:72], v[90:91]
	v_add_f64 v[171:172], v[2:3], v[65:66]
	;; [unrolled: 1-line block ×3, first 2 shown]
	v_mul_f64 v[61:62], v[61:62], -0.5
	v_fma_f64 v[137:138], v[28:29], s[8:9], v[92:93]
	v_fma_f64 v[90:91], v[95:96], 0.5, v[135:136]
	v_fma_f64 v[135:136], v[116:117], -0.5, v[173:174]
	v_add_f64 v[106:107], v[106:107], v[112:113]
	v_fma_f64 v[28:29], v[28:29], s[6:7], v[92:93]
	v_fma_f64 v[92:93], v[95:96], s[8:9], v[110:111]
	v_add_f64 v[95:96], v[2:3], -v[65:66]
	v_add_f64 v[2:3], v[69:70], v[71:72]
	v_add_f64 v[112:113], v[97:98], v[30:31]
	v_add_f64 v[69:70], v[69:70], -v[71:72]
	v_add_f64 v[71:72], v[145:146], v[159:160]
	v_fma_f64 v[61:62], v[116:117], s[8:9], v[61:62]
	v_add_f64 v[65:66], v[175:176], v[90:91]
	v_add_f64 v[110:111], v[38:39], v[135:136]
	v_add_f64 v[116:117], v[104:105], v[106:107]
	v_add_f64 v[90:91], v[175:176], -v[90:91]
	v_add_f64 v[38:39], v[38:39], -v[135:136]
	v_add_f64 v[135:136], v[36:37], v[97:98]
	v_fma_f64 v[36:37], v[112:113], -0.5, v[36:37]
	v_add_f64 v[112:113], v[114:115], -v[143:144]
	v_add_f64 v[175:176], v[20:21], v[16:17]
	v_add_f64 v[177:178], v[104:105], -v[106:107]
	v_fma_f64 v[71:72], v[71:72], -0.5, v[139:140]
	v_add_f64 v[104:105], v[20:21], -v[16:17]
	v_add_f64 v[149:150], v[137:138], v[92:93]
	v_add_f64 v[92:93], v[137:138], -v[92:93]
	v_add_f64 v[106:107], v[135:136], v[30:31]
	v_add_f64 v[135:136], v[114:115], v[143:144]
	v_fma_f64 v[137:138], v[112:113], s[6:7], v[36:37]
	v_fma_f64 v[175:176], v[175:176], -0.5, v[24:25]
	v_add_f64 v[179:180], v[145:146], -v[159:160]
	v_fma_f64 v[36:37], v[112:113], s[8:9], v[36:37]
	v_fma_f64 v[112:113], v[104:105], s[8:9], v[71:72]
	;; [unrolled: 1-line block ×3, first 2 shown]
	v_add_f64 v[20:21], v[24:25], v[20:21]
	v_add_f64 v[104:105], v[42:43], v[114:115]
	v_fma_f64 v[42:43], v[135:136], -0.5, v[42:43]
	v_add_f64 v[30:31], v[97:98], -v[30:31]
	v_fma_f64 v[24:25], v[179:180], s[6:7], v[175:176]
	v_fma_f64 v[97:98], v[179:180], s[8:9], v[175:176]
	v_mul_f64 v[114:115], v[112:113], s[6:7]
	v_mul_f64 v[135:136], v[71:72], s[6:7]
	v_add_f64 v[139:140], v[139:140], v[145:146]
	v_mul_f64 v[112:113], v[112:113], 0.5
	v_add_f64 v[16:17], v[20:21], v[16:17]
	v_add_f64 v[173:174], v[28:29], v[61:62]
	;; [unrolled: 1-line block ×3, first 2 shown]
	v_mul_f64 v[71:72], v[71:72], -0.5
	v_fma_f64 v[20:21], v[24:25], 0.5, v[114:115]
	v_fma_f64 v[114:115], v[97:98], -0.5, v[135:136]
	v_add_f64 v[135:136], v[139:140], v[159:160]
	v_fma_f64 v[24:25], v[24:25], s[8:9], v[112:113]
	v_add_f64 v[28:29], v[28:29], -v[61:62]
	v_add_f64 v[61:62], v[106:107], v[16:17]
	v_add_f64 v[112:113], v[12:13], v[4:5]
	v_add_f64 v[16:17], v[106:107], -v[16:17]
	v_add_f64 v[106:107], v[163:164], v[161:162]
	v_fma_f64 v[143:144], v[30:31], s[8:9], v[42:43]
	v_fma_f64 v[30:31], v[30:31], s[6:7], v[42:43]
	;; [unrolled: 1-line block ×3, first 2 shown]
	v_add_f64 v[71:72], v[137:138], v[20:21]
	v_add_f64 v[97:98], v[36:37], v[114:115]
	;; [unrolled: 1-line block ×3, first 2 shown]
	v_add_f64 v[20:21], v[137:138], -v[20:21]
	v_add_f64 v[36:37], v[36:37], -v[114:115]
	v_add_f64 v[114:115], v[34:35], v[12:13]
	v_fma_f64 v[34:35], v[112:113], -0.5, v[34:35]
	v_add_f64 v[112:113], v[165:166], -v[99:100]
	v_add_f64 v[137:138], v[22:23], v[18:19]
	v_add_f64 v[135:136], v[104:105], -v[135:136]
	v_fma_f64 v[104:105], v[106:107], -0.5, v[141:142]
	v_add_f64 v[106:107], v[22:23], -v[18:19]
	v_add_f64 v[145:146], v[143:144], v[24:25]
	v_add_f64 v[143:144], v[143:144], -v[24:25]
	v_add_f64 v[24:25], v[114:115], v[4:5]
	v_add_f64 v[114:115], v[165:166], v[99:100]
	v_fma_f64 v[175:176], v[112:113], s[6:7], v[34:35]
	v_fma_f64 v[137:138], v[137:138], -0.5, v[26:27]
	v_add_f64 v[179:180], v[163:164], -v[161:162]
	v_fma_f64 v[34:35], v[112:113], s[8:9], v[34:35]
	v_fma_f64 v[112:113], v[106:107], s[8:9], v[104:105]
	;; [unrolled: 1-line block ×3, first 2 shown]
	v_add_f64 v[4:5], v[12:13], -v[4:5]
	v_add_f64 v[12:13], v[26:27], v[22:23]
	v_add_f64 v[106:107], v[157:158], v[165:166]
	v_fma_f64 v[114:115], v[114:115], -0.5, v[157:158]
	v_fma_f64 v[22:23], v[179:180], s[6:7], v[137:138]
	v_fma_f64 v[26:27], v[179:180], s[8:9], v[137:138]
	v_mul_f64 v[137:138], v[112:113], s[6:7]
	v_mul_f64 v[157:158], v[104:105], s[6:7]
	v_add_f64 v[141:142], v[141:142], v[163:164]
	v_add_f64 v[12:13], v[12:13], v[18:19]
	v_fma_f64 v[169:170], v[241:242], v[231:232], -v[169:170]
	v_add_f64 v[159:160], v[30:31], v[42:43]
	v_add_f64 v[99:100], v[106:107], v[99:100]
	v_mul_f64 v[106:107], v[112:113], 0.5
	v_fma_f64 v[112:113], v[4:5], s[8:9], v[114:115]
	v_fma_f64 v[18:19], v[22:23], 0.5, v[137:138]
	v_fma_f64 v[137:138], v[26:27], -0.5, v[157:158]
	v_add_f64 v[141:142], v[141:142], v[161:162]
	v_fma_f64 v[4:5], v[4:5], s[6:7], v[114:115]
	v_add_f64 v[30:31], v[30:31], -v[42:43]
	v_add_f64 v[42:43], v[24:25], v[12:13]
	v_add_f64 v[114:115], v[14:15], v[6:7]
	v_add_f64 v[12:13], v[24:25], -v[12:13]
	v_add_f64 v[24:25], v[59:60], v[48:49]
	v_mul_f64 v[104:105], v[104:105], -0.5
	v_fma_f64 v[22:23], v[22:23], s[8:9], v[106:107]
	v_add_f64 v[106:107], v[34:35], v[137:138]
	v_add_f64 v[157:158], v[99:100], v[141:142]
	;; [unrolled: 1-line block ×3, first 2 shown]
	v_add_f64 v[34:35], v[34:35], -v[137:138]
	v_fma_f64 v[32:33], v[114:115], -0.5, v[32:33]
	v_add_f64 v[114:115], v[169:170], -v[55:56]
	v_add_f64 v[137:138], v[0:1], v[57:58]
	v_add_f64 v[99:100], v[99:100], -v[141:142]
	v_fma_f64 v[24:25], v[24:25], -0.5, v[151:152]
	v_add_f64 v[141:142], v[0:1], -v[57:58]
	v_fma_f64 v[26:27], v[26:27], s[8:9], v[104:105]
	v_add_f64 v[104:105], v[175:176], v[18:19]
	v_add_f64 v[18:19], v[175:176], -v[18:19]
	v_add_f64 v[175:176], v[155:156], v[169:170]
	v_add_f64 v[169:170], v[169:170], v[55:56]
	v_fma_f64 v[179:180], v[114:115], s[6:7], v[32:33]
	v_fma_f64 v[137:138], v[137:138], -0.5, v[8:9]
	v_add_f64 v[181:182], v[59:60], -v[48:49]
	v_fma_f64 v[32:33], v[114:115], s[8:9], v[32:33]
	v_fma_f64 v[114:115], v[141:142], s[8:9], v[24:25]
	;; [unrolled: 1-line block ×3, first 2 shown]
	v_add_f64 v[165:166], v[165:166], v[6:7]
	v_fma_f64 v[141:142], v[169:170], -0.5, v[155:156]
	v_add_f64 v[6:7], v[14:15], -v[6:7]
	v_add_f64 v[0:1], v[8:9], v[0:1]
	v_fma_f64 v[8:9], v[181:182], s[6:7], v[137:138]
	v_fma_f64 v[14:15], v[181:182], s[8:9], v[137:138]
	v_mul_f64 v[137:138], v[114:115], s[6:7]
	v_mul_f64 v[155:156], v[24:25], s[6:7]
	v_mul_f64 v[24:25], v[24:25], -0.5
	v_add_f64 v[59:60], v[151:152], v[59:60]
	v_fma_f64 v[151:152], v[6:7], s[8:9], v[141:142]
	v_fma_f64 v[6:7], v[6:7], s[6:7], v[141:142]
	v_add_f64 v[0:1], v[0:1], v[57:58]
	v_mul_f64 v[114:115], v[114:115], 0.5
	v_fma_f64 v[57:58], v[8:9], 0.5, v[137:138]
	v_fma_f64 v[137:138], v[14:15], -0.5, v[155:156]
	v_fma_f64 v[14:15], v[14:15], s[8:9], v[24:25]
	v_add_f64 v[161:162], v[112:113], v[22:23]
	v_add_f64 v[163:164], v[4:5], v[26:27]
	v_add_f64 v[141:142], v[112:113], -v[22:23]
	v_add_f64 v[155:156], v[4:5], -v[26:27]
	v_add_f64 v[55:56], v[175:176], v[55:56]
	v_add_f64 v[22:23], v[179:180], v[57:58]
	v_add_f64 v[26:27], v[179:180], -v[57:58]
	v_add_f64 v[181:182], v[6:7], v[14:15]
	v_add_f64 v[57:58], v[6:7], -v[14:15]
	v_mov_b32_e32 v6, 0x12c0
	v_cndmask_b32_e64 v6, 0, v6, s[0:1]
	v_lshlrev_b32_e32 v7, 3, v44
	v_add_f64 v[48:49], v[59:60], v[48:49]
	v_fma_f64 v[8:9], v[8:9], s[8:9], v[114:115]
	v_add_f64 v[4:5], v[165:166], v[0:1]
	v_add_f64 v[24:25], v[32:33], v[137:138]
	v_add_f64 v[0:1], v[165:166], -v[0:1]
	v_add_f64 v[32:33], v[32:33], -v[137:138]
	v_add3_u32 v44, 0, v6, v7
	v_add_u32_e32 v77, 0x800, v44
	v_mul_u32_u24_e32 v6, 0x12c0, v45
	v_lshlrev_b32_sdwa v7, v68, v46 dst_sel:DWORD dst_unused:UNUSED_PAD src0_sel:DWORD src1_sel:BYTE_0
	s_barrier
	v_add_u32_e32 v59, 0x400, v44
	ds_write2_b64 v77, v[88:89], v[40:41] offset0:144 offset1:244
	v_add3_u32 v40, 0, v6, v7
	ds_write2_b64 v44, v[63:64], v[79:80] offset1:100
	ds_write2_b64 v59, v[101:102], v[10:11] offset0:72 offset1:172
	ds_write2_b64 v40, v[2:3], v[65:66] offset1:100
	v_mul_u32_u24_e32 v2, 0x12c0, v47
	v_lshlrev_b32_e32 v3, 3, v50
	v_add3_u32 v46, 0, v2, v3
	v_mul_u32_u24_e32 v2, 0x12c0, v51
	v_lshlrev_b32_e32 v3, 3, v52
	v_add3_u32 v51, 0, v2, v3
	v_mul_u32_u24_e32 v2, 0x12c0, v53
	v_lshlrev_b32_e32 v3, 3, v54
	v_add_u32_e32 v41, 0x400, v40
	v_add_u32_e32 v45, 0x800, v40
	;; [unrolled: 1-line block ×4, first 2 shown]
	v_add3_u32 v52, 0, v2, v3
	ds_write2_b64 v41, v[110:111], v[69:70] offset0:72 offset1:172
	ds_write2_b64 v45, v[90:91], v[38:39] offset0:144 offset1:244
	ds_write2_b64 v46, v[61:62], v[71:72] offset1:100
	ds_write2_b64 v47, v[97:98], v[16:17] offset0:72 offset1:172
	ds_write2_b64 v50, v[20:21], v[36:37] offset0:144 offset1:244
	ds_write2_b64 v51, v[42:43], v[104:105] offset1:100
	v_add_u32_e32 v42, 0x400, v51
	v_add_u32_e32 v43, 0x800, v51
	;; [unrolled: 1-line block ×4, first 2 shown]
	v_add_f64 v[169:170], v[55:56], v[48:49]
	v_add_f64 v[175:176], v[151:152], v[8:9]
	v_add_f64 v[48:49], v[55:56], -v[48:49]
	v_add_f64 v[55:56], v[151:152], -v[8:9]
	ds_write2_b64 v42, v[106:107], v[12:13] offset0:72 offset1:172
	ds_write2_b64 v43, v[18:19], v[34:35] offset0:144 offset1:244
	ds_write2_b64 v52, v[4:5], v[22:23] offset1:100
	ds_write2_b64 v53, v[24:25], v[0:1] offset0:72 offset1:172
	ds_write2_b64 v54, v[26:27], v[32:33] offset0:144 offset1:244
	s_waitcnt lgkmcnt(0)
	s_barrier
	ds_read_b64 v[104:105], v130
	ds_read2_b64 v[8:11], v131 offset0:88 offset1:208
	ds_read2_b64 v[0:3], v74 offset0:56 offset1:176
	ds_read2_b64 v[12:15], v119 offset0:8 offset1:128
	ds_read2_b64 v[4:7], v78 offset0:104 offset1:224
	ds_read2_b64 v[16:19], v132 offset0:56 offset1:176
	ds_read2_b64 v[32:35], v134 offset0:40 offset1:160
	ds_read2_b64 v[36:39], v133 offset0:88 offset1:208
	ds_read_b64 v[106:107], v85
	ds_read_b64 v[110:111], v86
	ds_read2_b64 v[60:63], v82 offset0:72 offset1:192
	ds_read2_b64 v[70:73], v87 offset0:120 offset1:240
	;; [unrolled: 1-line block ×5, first 2 shown]
	ds_read_b64 v[112:113], v83
	ds_read_b64 v[68:69], v84
	ds_read_b64 v[114:115], v130 offset:27840
	s_waitcnt lgkmcnt(0)
	s_barrier
	ds_write2_b64 v44, v[147:148], v[167:168] offset1:100
	ds_write2_b64 v59, v[171:172], v[108:109] offset0:72 offset1:172
	ds_write2_b64 v77, v[153:154], v[95:96] offset0:144 offset1:244
	ds_write2_b64 v40, v[116:117], v[149:150] offset1:100
	ds_write2_b64 v41, v[173:174], v[177:178] offset0:72 offset1:172
	ds_write2_b64 v45, v[92:93], v[28:29] offset0:144 offset1:244
	;; [unrolled: 3-line block ×5, first 2 shown]
	s_waitcnt lgkmcnt(0)
	s_barrier
	s_and_saveexec_b64 s[0:1], vcc
	s_cbranch_execz .LBB0_15
; %bb.14:
	v_mul_i32_i24_e32 v102, 5, v128
	v_lshlrev_b64 v[28:29], 4, v[102:103]
	v_mov_b32_e32 v128, s13
	v_add_co_u32_e32 v28, vcc, s12, v28
	v_addc_co_u32_e32 v29, vcc, v128, v29, vcc
	s_movk_i32 s0, 0x24e0
	v_add_co_u32_e32 v56, vcc, s0, v28
	v_addc_co_u32_e32 v57, vcc, 0, v29, vcc
	v_add_co_u32_e32 v58, vcc, s14, v28
	v_addc_co_u32_e32 v59, vcc, 0, v29, vcc
	global_load_dwordx4 v[28:31], v[58:59], off offset:1248
	global_load_dwordx4 v[40:43], v[56:57], off offset:48
	;; [unrolled: 1-line block ×5, first 2 shown]
	v_mul_i32_i24_e32 v102, 5, v126
	v_lshlrev_b64 v[56:57], 4, v[102:103]
	v_mul_lo_u32 v154, s5, v122
	v_add_co_u32_e32 v56, vcc, s12, v56
	v_addc_co_u32_e32 v57, vcc, v128, v57, vcc
	v_add_co_u32_e32 v79, vcc, s0, v56
	v_addc_co_u32_e32 v80, vcc, 0, v57, vcc
	;; [unrolled: 2-line block ×3, first 2 shown]
	global_load_dwordx4 v[90:93], v[79:80], off offset:16
	global_load_dwordx4 v[56:59], v[79:80], off offset:48
	;; [unrolled: 1-line block ×4, first 2 shown]
                                        ; kill: killed $vgpr79 killed $vgpr80
	global_load_dwordx4 v[140:143], v[85:86], off offset:1248
	v_mul_lo_u32 v155, s4, v123
	v_mad_u64_u32 v[108:109], s[4:5], s4, v122, 0
	ds_read2_b64 v[144:147], v75 offset0:24 offset1:144
	ds_read2_b64 v[148:151], v76 offset0:72 offset1:192
	ds_read2_b64 v[74:77], v74 offset0:56 offset1:176
	ds_read2_b64 v[78:81], v78 offset0:104 offset1:224
	ds_read_b64 v[122:123], v83
	ds_read_b64 v[116:117], v84
	ds_read2_b64 v[82:85], v82 offset0:72 offset1:192
	ds_read2_b64 v[86:89], v87 offset0:120 offset1:240
	;; [unrolled: 1-line block ×3, first 2 shown]
	ds_read_b64 v[172:173], v130 offset:27840
	ds_read_b64 v[174:175], v130
	v_mul_i32_i24_e32 v102, 5, v127
	v_lshlrev_b64 v[152:153], 4, v[102:103]
	v_mul_i32_i24_e32 v135, 0xffffffb8, v127
	v_add_co_u32_e32 v102, vcc, s12, v152
	v_addc_co_u32_e32 v127, vcc, v128, v153, vcc
	v_add_co_u32_e32 v164, vcc, s0, v102
	v_addc_co_u32_e32 v165, vcc, 0, v127, vcc
	;; [unrolled: 2-line block ×3, first 2 shown]
	v_add3_u32 v109, v109, v155, v154
	global_load_dwordx4 v[152:155], v[168:169], off offset:1248
	global_load_dwordx4 v[156:159], v[164:165], off offset:48
	;; [unrolled: 1-line block ×3, first 2 shown]
	s_nop 0
	global_load_dwordx4 v[164:167], v[164:165], off offset:16
	s_nop 0
	global_load_dwordx4 v[168:171], v[168:169], off offset:1312
	v_mul_i32_i24_e32 v102, 5, v125
	v_mul_i32_i24_e32 v126, 0xffffffb8, v125
	v_add_u32_e32 v125, v129, v135
	v_add_u32_e32 v118, v118, v126
	s_movk_i32 s1, 0xe10
	s_waitcnt vmcnt(14) lgkmcnt(8)
	v_mul_f64 v[176:177], v[30:31], v[74:75]
	v_mul_f64 v[30:31], v[0:1], v[30:31]
	s_waitcnt vmcnt(12)
	v_mul_f64 v[184:185], v[4:5], v[46:47]
	s_waitcnt vmcnt(11)
	v_mul_f64 v[180:181], v[22:23], v[50:51]
	s_waitcnt vmcnt(10) lgkmcnt(1)
	v_mul_f64 v[178:179], v[54:55], v[172:173]
	v_mul_f64 v[54:55], v[114:115], v[54:55]
	;; [unrolled: 1-line block ×6, first 2 shown]
	v_fma_f64 v[78:79], v[44:45], v[78:79], -v[184:185]
	v_fma_f64 v[30:31], v[28:29], v[74:75], -v[30:31]
	v_fma_f64 v[0:1], v[0:1], v[28:29], v[176:177]
	v_fma_f64 v[54:55], v[52:53], v[172:173], -v[54:55]
	v_fma_f64 v[52:53], v[114:115], v[52:53], v[178:179]
	v_fma_f64 v[4:5], v[4:5], v[44:45], v[46:47]
	v_fma_f64 v[44:45], v[48:49], v[146:147], -v[180:181]
	v_fma_f64 v[74:75], v[40:41], v[150:151], -v[182:183]
	s_waitcnt vmcnt(7)
	v_mul_f64 v[190:191], v[100:101], v[88:89]
	s_waitcnt vmcnt(6)
	v_mul_f64 v[192:193], v[138:139], v[96:97]
	v_mul_f64 v[100:101], v[72:73], v[100:101]
	v_add_f64 v[46:47], v[78:79], v[54:55]
	v_mul_f64 v[138:139], v[66:67], v[138:139]
	v_fma_f64 v[22:23], v[22:23], v[48:49], v[50:51]
	v_fma_f64 v[40:41], v[26:27], v[40:41], v[42:43]
	v_add_f64 v[26:27], v[4:5], v[52:53]
	v_add_f64 v[28:29], v[4:5], -v[52:53]
	v_mul_f64 v[186:187], v[20:21], v[92:93]
	v_fma_f64 v[48:49], v[98:99], v[88:89], -v[100:101]
	v_fma_f64 v[42:43], v[46:47], -0.5, v[30:31]
	v_add_f64 v[46:47], v[44:45], v[74:75]
	v_fma_f64 v[88:89], v[136:137], v[96:97], -v[138:139]
	v_add_f64 v[50:51], v[22:23], -v[40:41]
	v_add_f64 v[96:97], v[78:79], -v[54:55]
	v_add_f64 v[100:101], v[122:123], v[44:45]
	v_fma_f64 v[26:27], v[26:27], -0.5, v[0:1]
	v_add_f64 v[30:31], v[30:31], v[78:79]
	v_fma_f64 v[78:79], v[28:29], s[6:7], v[42:43]
	v_fma_f64 v[28:29], v[28:29], s[8:9], v[42:43]
	v_add_f64 v[42:43], v[22:23], v[40:41]
	v_fma_f64 v[46:47], v[46:47], -0.5, v[122:123]
	v_mul_f64 v[188:189], v[24:25], v[58:59]
	s_waitcnt vmcnt(5)
	v_mul_f64 v[172:173], v[62:63], v[142:143]
	v_add_f64 v[44:45], v[44:45], -v[74:75]
	v_add_f64 v[74:75], v[100:101], v[74:75]
	v_fma_f64 v[100:101], v[96:97], s[8:9], v[26:27]
	v_fma_f64 v[26:27], v[96:97], s[6:7], v[26:27]
	v_mul_f64 v[96:97], v[78:79], -0.5
	v_mul_f64 v[114:115], v[28:29], 0.5
	v_fma_f64 v[42:43], v[42:43], -0.5, v[112:113]
	v_fma_f64 v[122:123], v[50:51], s[6:7], v[46:47]
	v_fma_f64 v[46:47], v[50:51], s[8:9], v[46:47]
	v_mul_f64 v[50:51], v[78:79], s[6:7]
	v_mul_f64 v[28:29], v[28:29], s[6:7]
	v_add_f64 v[112:113], v[112:113], v[22:23]
	v_fma_f64 v[78:79], v[100:101], s[8:9], v[96:97]
	v_fma_f64 v[96:97], v[26:27], s[8:9], v[114:115]
	;; [unrolled: 1-line block ×4, first 2 shown]
	v_add_f64 v[0:1], v[0:1], v[4:5]
	v_fma_f64 v[100:101], v[100:101], -0.5, v[50:51]
	v_fma_f64 v[138:139], v[26:27], 0.5, v[28:29]
	v_mul_f64 v[4:5], v[142:143], v[84:85]
	v_fma_f64 v[72:73], v[72:73], v[98:99], v[190:191]
	v_fma_f64 v[66:67], v[66:67], v[136:137], v[192:193]
	v_fma_f64 v[84:85], v[140:141], v[84:85], -v[172:173]
	v_add_f64 v[28:29], v[48:49], v[88:89]
	v_fma_f64 v[98:99], v[90:91], v[144:145], -v[186:187]
	v_fma_f64 v[136:137], v[56:57], v[148:149], -v[188:189]
	v_mul_f64 v[42:43], v[144:145], v[92:93]
	v_mul_f64 v[50:51], v[148:149], v[58:59]
	v_fma_f64 v[4:5], v[62:63], v[140:141], v[4:5]
	v_add_f64 v[58:59], v[72:73], v[66:67]
	v_add_f64 v[62:63], v[112:113], v[40:41]
	v_fma_f64 v[40:41], v[28:29], -0.5, v[84:85]
	v_add_f64 v[92:93], v[72:73], -v[66:67]
	v_add_f64 v[0:1], v[0:1], v[52:53]
	v_add_f64 v[52:53], v[98:99], v[136:137]
	v_fma_f64 v[90:91], v[20:21], v[90:91], v[42:43]
	v_fma_f64 v[56:57], v[24:25], v[56:57], v[50:51]
	v_add_f64 v[54:55], v[30:31], v[54:55]
	v_add_f64 v[22:23], v[122:123], -v[78:79]
	v_fma_f64 v[58:59], v[58:59], -0.5, v[4:5]
	v_add_f64 v[112:113], v[48:49], -v[88:89]
	v_fma_f64 v[140:141], v[92:93], s[6:7], v[40:41]
	v_add_f64 v[42:43], v[122:123], v[78:79]
	v_fma_f64 v[52:53], v[52:53], -0.5, v[116:117]
	v_add_f64 v[78:79], v[90:91], -v[56:57]
	v_fma_f64 v[92:93], v[92:93], s[8:9], v[40:41]
	v_add_f64 v[30:31], v[74:75], -v[54:55]
	v_add_f64 v[26:27], v[46:47], -v[96:97]
	v_fma_f64 v[122:123], v[112:113], s[8:9], v[58:59]
	v_mul_f64 v[142:143], v[140:141], -0.5
	v_add_f64 v[46:47], v[46:47], v[96:97]
	v_add_f64 v[50:51], v[74:75], v[54:55]
	;; [unrolled: 1-line block ×3, first 2 shown]
	v_fma_f64 v[74:75], v[78:79], s[6:7], v[52:53]
	v_fma_f64 v[58:59], v[112:113], s[6:7], v[58:59]
	v_mul_f64 v[96:97], v[92:93], 0.5
	v_fma_f64 v[78:79], v[78:79], s[8:9], v[52:53]
	v_add_f64 v[52:53], v[116:117], v[98:99]
	v_add_f64 v[48:49], v[84:85], v[48:49]
	v_add_f64 v[20:21], v[114:115], -v[100:101]
	v_add_f64 v[40:41], v[114:115], v[100:101]
	v_fma_f64 v[100:101], v[122:123], s[8:9], v[142:143]
	v_fma_f64 v[54:55], v[54:55], -0.5, v[68:69]
	v_add_f64 v[84:85], v[98:99], -v[136:137]
	v_fma_f64 v[96:97], v[58:59], s[8:9], v[96:97]
	v_mul_f64 v[92:93], v[92:93], s[6:7]
	v_add_f64 v[68:69], v[68:69], v[90:91]
	v_add_f64 v[90:91], v[52:53], v[136:137]
	;; [unrolled: 1-line block ×3, first 2 shown]
	v_add_f64 v[28:29], v[62:63], -v[0:1]
	v_add_f64 v[4:5], v[4:5], v[72:73]
	v_fma_f64 v[148:149], v[84:85], s[8:9], v[54:55]
	v_fma_f64 v[150:151], v[84:85], s[6:7], v[54:55]
	v_fma_f64 v[92:93], v[58:59], 0.5, v[92:93]
	v_add_f64 v[172:173], v[68:69], v[56:57]
	v_add_f64 v[48:49], v[62:63], v[0:1]
	v_add_f64 v[54:55], v[74:75], -v[100:101]
	v_add_f64 v[58:59], v[78:79], -v[96:97]
	;; [unrolled: 1-line block ×3, first 2 shown]
	v_add_f64 v[62:63], v[74:75], v[100:101]
	v_add_f64 v[72:73], v[78:79], v[96:97]
	s_waitcnt vmcnt(2)
	v_mul_f64 v[74:75], v[162:163], v[86:87]
	v_add_f64 v[84:85], v[90:91], v[88:89]
	v_mul_f64 v[78:79], v[70:71], v[162:163]
	s_waitcnt vmcnt(0)
	v_mul_f64 v[88:89], v[64:65], v[170:171]
	v_mul_f64 v[98:99], v[140:141], s[6:7]
	v_add_f64 v[24:25], v[44:45], -v[138:139]
	v_add_f64 v[44:45], v[44:45], v[138:139]
	v_mul_f64 v[0:1], v[34:35], v[166:167]
	v_fma_f64 v[74:75], v[70:71], v[160:161], v[74:75]
	v_mul_f64 v[70:71], v[170:171], v[94:95]
	v_fma_f64 v[78:79], v[160:161], v[86:87], -v[78:79]
	v_fma_f64 v[86:87], v[168:169], v[94:95], -v[88:89]
	v_lshlrev_b64 v[94:95], 4, v[102:103]
	v_mul_f64 v[90:91], v[38:39], v[158:159]
	v_add_co_u32_e32 v102, vcc, s12, v94
	v_addc_co_u32_e32 v103, vcc, v128, v95, vcc
	v_add_co_u32_e32 v94, vcc, s0, v102
	v_addc_co_u32_e32 v95, vcc, 0, v103, vcc
	;; [unrolled: 2-line block ×3, first 2 shown]
	v_mul_f64 v[88:89], v[60:61], v[154:155]
	global_load_dwordx4 v[136:139], v[94:95], off offset:32
	global_load_dwordx4 v[140:143], v[102:103], off offset:1312
	v_fma_f64 v[122:123], v[122:123], -0.5, v[98:99]
	ds_read2_b64 v[98:101], v134 offset0:40 offset1:160
	ds_read2_b64 v[112:115], v133 offset0:88 offset1:208
	v_mul_f64 v[96:97], v[154:155], v[82:83]
	v_fma_f64 v[64:65], v[64:65], v[168:169], v[70:71]
	v_fma_f64 v[82:83], v[152:153], v[82:83], -v[88:89]
	s_waitcnt lgkmcnt(1)
	v_fma_f64 v[0:1], v[164:165], v[100:101], -v[0:1]
	s_waitcnt lgkmcnt(0)
	v_fma_f64 v[90:91], v[156:157], v[114:115], -v[90:91]
	v_mul_f64 v[88:89], v[100:101], v[166:167]
	global_load_dwordx4 v[100:103], v[102:103], off offset:1248
	v_mul_f64 v[133:134], v[114:115], v[158:159]
	global_load_dwordx4 v[114:117], v[94:95], off offset:16
	global_load_dwordx4 v[144:147], v[94:95], off offset:48
	v_add_f64 v[70:71], v[78:79], v[86:87]
	v_fma_f64 v[96:97], v[60:61], v[152:153], v[96:97]
	v_add_f64 v[60:61], v[74:75], v[64:65]
	v_add_f64 v[94:95], v[74:75], -v[64:65]
	v_add_f64 v[152:153], v[0:1], v[90:91]
	v_fma_f64 v[34:35], v[34:35], v[164:165], v[88:89]
	v_fma_f64 v[38:39], v[38:39], v[156:157], v[133:134]
	ds_read_b64 v[129:130], v125
	v_fma_f64 v[70:71], v[70:71], -0.5, v[82:83]
	v_add_f64 v[133:134], v[78:79], -v[86:87]
	v_fma_f64 v[88:89], v[60:61], -0.5, v[96:97]
	v_add_f64 v[4:5], v[4:5], v[66:67]
	v_add_f64 v[52:53], v[148:149], -v[122:123]
	v_add_f64 v[56:57], v[150:151], -v[92:93]
	v_add_f64 v[60:61], v[148:149], v[122:123]
	v_add_f64 v[148:149], v[34:35], -v[38:39]
	v_fma_f64 v[154:155], v[94:95], s[6:7], v[70:71]
	v_fma_f64 v[94:95], v[94:95], s[8:9], v[70:71]
	v_add_f64 v[70:71], v[150:151], v[92:93]
	s_waitcnt lgkmcnt(0)
	v_fma_f64 v[92:93], v[152:153], -0.5, v[129:130]
	v_add_f64 v[129:130], v[129:130], v[0:1]
	v_fma_f64 v[160:161], v[133:134], s[8:9], v[88:89]
	v_add_f64 v[78:79], v[82:83], v[78:79]
	v_add_f64 v[66:67], v[172:173], -v[4:5]
	v_mul_f64 v[150:151], v[154:155], -0.5
	v_add_f64 v[82:83], v[172:173], v[4:5]
	v_fma_f64 v[88:89], v[133:134], s[6:7], v[88:89]
	v_fma_f64 v[4:5], v[148:149], s[6:7], v[92:93]
	;; [unrolled: 1-line block ×3, first 2 shown]
	v_mul_u32_u24_e32 v92, 5, v124
	v_lshlrev_b32_e32 v92, 4, v92
	v_add_co_u32_e32 v92, vcc, s12, v92
	v_addc_co_u32_e32 v93, vcc, 0, v128, vcc
	v_mul_f64 v[133:134], v[94:95], 0.5
	v_add_f64 v[0:1], v[0:1], -v[90:91]
	v_add_f64 v[178:179], v[129:130], v[90:91]
	v_mul_f64 v[90:91], v[94:95], s[6:7]
	v_add_co_u32_e32 v94, vcc, s0, v92
	v_addc_co_u32_e32 v95, vcc, 0, v93, vcc
	v_add_co_u32_e32 v92, vcc, s14, v92
	v_add_f64 v[122:123], v[34:35], v[38:39]
	v_fma_f64 v[168:169], v[160:161], s[8:9], v[150:151]
	v_add_f64 v[78:79], v[78:79], v[86:87]
	v_mul_f64 v[86:87], v[154:155], s[6:7]
	v_addc_co_u32_e32 v93, vcc, 0, v93, vcc
	global_load_dwordx4 v[127:130], v[94:95], off offset:48
	global_load_dwordx4 v[148:151], v[94:95], off offset:32
	global_load_dwordx4 v[152:155], v[92:93], off offset:1248
	global_load_dwordx4 v[156:159], v[92:93], off offset:1312
	v_add_f64 v[34:35], v[110:111], v[34:35]
	v_fma_f64 v[122:123], v[122:123], -0.5, v[110:111]
	v_add_f64 v[74:75], v[96:97], v[74:75]
	v_fma_f64 v[176:177], v[88:89], s[8:9], v[133:134]
	v_fma_f64 v[110:111], v[160:161], -0.5, v[86:87]
	global_load_dwordx4 v[160:163], v[94:95], off offset:16
	ds_read2_b64 v[164:167], v119 offset0:8 offset1:128
	ds_read2_b64 v[132:135], v132 offset0:56 offset1:176
	v_add_f64 v[182:183], v[34:35], v[38:39]
	v_fma_f64 v[180:181], v[0:1], s[8:9], v[122:123]
	v_add_f64 v[64:65], v[74:75], v[64:65]
	v_fma_f64 v[0:1], v[0:1], s[6:7], v[122:123]
	v_fma_f64 v[122:123], v[88:89], 0.5, v[90:91]
	v_add_f64 v[88:89], v[4:5], -v[168:169]
	s_waitcnt vmcnt(9)
	v_mul_f64 v[38:39], v[14:15], v[138:139]
	s_waitcnt vmcnt(8)
	v_mul_f64 v[74:75], v[18:19], v[142:143]
	v_add_f64 v[92:93], v[172:173], -v[176:177]
	v_add_f64 v[34:35], v[4:5], v[168:169]
	s_waitcnt lgkmcnt(1)
	v_mul_f64 v[4:5], v[138:139], v[166:167]
	s_waitcnt lgkmcnt(0)
	v_mul_f64 v[138:139], v[142:143], v[134:135]
	ds_read2_b64 v[168:171], v131 offset0:88 offset1:208
	v_add_f64 v[96:97], v[178:179], -v[78:79]
	v_fma_f64 v[142:143], v[136:137], v[166:167], -v[38:39]
	v_fma_f64 v[74:75], v[140:141], v[134:135], -v[74:75]
	v_add_f64 v[38:39], v[172:173], v[176:177]
	s_waitcnt vmcnt(7)
	v_mul_f64 v[166:167], v[10:11], v[102:103]
	s_waitcnt vmcnt(6)
	v_mul_f64 v[134:135], v[32:33], v[116:117]
	;; [unrolled: 2-line block ×3, first 2 shown]
	s_waitcnt lgkmcnt(0)
	v_mul_f64 v[176:177], v[102:103], v[170:171]
	v_fma_f64 v[14:15], v[14:15], v[136:137], v[4:5]
	v_fma_f64 v[18:19], v[18:19], v[140:141], v[138:139]
	v_add_f64 v[136:137], v[142:143], v[74:75]
	v_add_f64 v[102:103], v[178:179], v[78:79]
	v_fma_f64 v[4:5], v[100:101], v[170:171], -v[166:167]
	v_fma_f64 v[78:79], v[114:115], v[98:99], -v[134:135]
	;; [unrolled: 1-line block ×3, first 2 shown]
	v_mul_f64 v[98:99], v[98:99], v[116:117]
	v_mul_f64 v[112:113], v[112:113], v[146:147]
	v_fma_f64 v[116:117], v[10:11], v[100:101], v[176:177]
	v_add_f64 v[10:11], v[14:15], v[18:19]
	v_add_f64 v[86:87], v[180:181], -v[110:111]
	v_fma_f64 v[100:101], v[136:137], -0.5, v[4:5]
	v_add_f64 v[136:137], v[14:15], -v[18:19]
	v_add_f64 v[125:126], v[78:79], v[134:135]
	v_fma_f64 v[98:99], v[32:33], v[114:115], v[98:99]
	v_fma_f64 v[114:115], v[36:37], v[144:145], v[112:113]
	v_add_f64 v[112:113], v[142:143], -v[74:75]
	v_fma_f64 v[10:11], v[10:11], -0.5, v[116:117]
	v_add_f64 v[32:33], v[180:181], v[110:111]
	ds_read_b64 v[118:119], v118
	v_fma_f64 v[138:139], v[136:137], s[6:7], v[100:101]
	v_fma_f64 v[110:111], v[136:137], s[8:9], v[100:101]
	v_add_f64 v[90:91], v[0:1], -v[122:123]
	v_add_f64 v[100:101], v[98:99], v[114:115]
	v_add_f64 v[36:37], v[0:1], v[122:123]
	s_waitcnt lgkmcnt(0)
	v_fma_f64 v[0:1], v[125:126], -0.5, v[118:119]
	v_fma_f64 v[125:126], v[112:113], s[8:9], v[10:11]
	v_fma_f64 v[140:141], v[112:113], s[6:7], v[10:11]
	v_mul_f64 v[136:137], v[138:139], -0.5
	v_add_f64 v[112:113], v[118:119], v[78:79]
	v_add_f64 v[94:95], v[182:183], -v[64:65]
	v_fma_f64 v[118:119], v[100:101], -0.5, v[106:107]
	v_mul_f64 v[100:101], v[138:139], s[6:7]
	v_add_f64 v[122:123], v[98:99], -v[114:115]
	v_mul_f64 v[10:11], v[110:111], 0.5
	v_add_f64 v[78:79], v[78:79], -v[134:135]
	v_fma_f64 v[136:137], v[125:126], s[8:9], v[136:137]
	v_add_f64 v[98:99], v[106:107], v[98:99]
	v_add_f64 v[4:5], v[4:5], v[142:143]
	;; [unrolled: 1-line block ×3, first 2 shown]
	v_fma_f64 v[125:126], v[125:126], -0.5, v[100:101]
	v_add_f64 v[100:101], v[182:183], v[64:65]
	v_mul_f64 v[64:65], v[110:111], s[6:7]
	v_fma_f64 v[138:139], v[122:123], s[6:7], v[0:1]
	v_fma_f64 v[0:1], v[122:123], s[8:9], v[0:1]
	;; [unrolled: 1-line block ×4, first 2 shown]
	s_waitcnt vmcnt(3)
	v_mul_f64 v[106:107], v[12:13], v[150:151]
	v_fma_f64 v[78:79], v[78:79], s[6:7], v[118:119]
	s_waitcnt vmcnt(1)
	v_mul_f64 v[144:145], v[16:17], v[158:159]
	v_fma_f64 v[64:65], v[140:141], 0.5, v[64:65]
	v_add_f64 v[98:99], v[98:99], v[114:115]
	v_mul_f64 v[114:115], v[150:151], v[164:165]
	v_mul_f64 v[118:119], v[158:159], v[132:133]
	;; [unrolled: 1-line block ×3, first 2 shown]
	v_fma_f64 v[106:107], v[148:149], v[164:165], -v[106:107]
	v_mul_f64 v[146:147], v[6:7], v[129:130]
	v_fma_f64 v[131:132], v[156:157], v[132:133], -v[144:145]
	s_waitcnt vmcnt(0)
	v_mul_f64 v[144:145], v[2:3], v[162:163]
	v_mul_f64 v[116:117], v[154:155], v[168:169]
	v_fma_f64 v[114:115], v[12:13], v[148:149], v[114:115]
	v_fma_f64 v[118:119], v[16:17], v[156:157], v[118:119]
	v_fma_f64 v[140:141], v[152:153], v[168:169], -v[140:141]
	v_mul_f64 v[16:17], v[76:77], v[162:163]
	v_add_f64 v[134:135], v[112:113], v[134:135]
	v_add_f64 v[12:13], v[106:107], v[131:132]
	v_fma_f64 v[144:145], v[160:161], v[76:77], -v[144:145]
	v_mul_f64 v[76:77], v[80:81], v[129:130]
	v_add_f64 v[74:75], v[4:5], v[74:75]
	v_fma_f64 v[146:147], v[127:128], v[80:81], -v[146:147]
	v_fma_f64 v[80:81], v[8:9], v[152:153], v[116:117]
	v_add_f64 v[116:117], v[114:115], v[118:119]
	v_add_f64 v[148:149], v[114:115], -v[118:119]
	v_fma_f64 v[12:13], v[12:13], -0.5, v[140:141]
	v_fma_f64 v[152:153], v[2:3], v[160:161], v[16:17]
	v_fma_f64 v[6:7], v[6:7], v[127:128], v[76:77]
	v_add_f64 v[112:113], v[138:139], -v[136:137]
	v_add_f64 v[4:5], v[134:135], -v[74:75]
	v_add_f64 v[129:130], v[14:15], v[18:19]
	v_add_f64 v[8:9], v[78:79], -v[64:65]
	v_fma_f64 v[116:117], v[116:117], -0.5, v[80:81]
	v_add_f64 v[127:128], v[106:107], -v[131:132]
	v_fma_f64 v[154:155], v[148:149], s[6:7], v[12:13]
	v_add_f64 v[14:15], v[138:139], v[136:137]
	v_add_f64 v[76:77], v[134:135], v[74:75]
	v_fma_f64 v[135:136], v[148:149], s[8:9], v[12:13]
	v_add_f64 v[16:17], v[78:79], v[64:65]
	v_add_f64 v[64:65], v[152:153], v[6:7]
	;; [unrolled: 1-line block ×3, first 2 shown]
	v_fma_f64 v[133:134], v[127:128], s[8:9], v[116:117]
	v_mul_f64 v[137:138], v[154:155], -0.5
	v_fma_f64 v[78:79], v[127:128], s[6:7], v[116:117]
	v_add_f64 v[127:128], v[144:145], -v[146:147]
	v_mul_f64 v[116:117], v[135:136], 0.5
	v_add_f64 v[10:11], v[0:1], -v[122:123]
	v_fma_f64 v[64:65], v[64:65], -0.5, v[104:105]
	v_add_f64 v[18:19], v[0:1], v[122:123]
	v_fma_f64 v[0:1], v[150:151], -0.5, v[174:175]
	v_add_f64 v[122:123], v[152:153], -v[6:7]
	s_mov_b32 s0, 0x1b4e81b5
	v_add_f64 v[110:111], v[142:143], -v[125:126]
	v_add_f64 v[2:3], v[98:99], -v[129:130]
	v_add_f64 v[12:13], v[142:143], v[125:126]
	v_add_f64 v[74:75], v[98:99], v[129:130]
	v_fma_f64 v[125:126], v[133:134], s[8:9], v[137:138]
	v_add_f64 v[106:107], v[140:141], v[106:107]
	v_mul_f64 v[129:130], v[154:155], s[6:7]
	v_fma_f64 v[137:138], v[78:79], s[8:9], v[116:117]
	v_mul_f64 v[116:117], v[135:136], s[6:7]
	v_fma_f64 v[139:140], v[127:128], s[8:9], v[64:65]
	v_fma_f64 v[64:65], v[127:128], s[6:7], v[64:65]
	v_mul_hi_u32 v127, v124, s0
	v_fma_f64 v[98:99], v[122:123], s[6:7], v[0:1]
	v_fma_f64 v[0:1], v[122:123], s[8:9], v[0:1]
	v_add_f64 v[122:123], v[174:175], v[144:145]
	v_add_f64 v[104:105], v[104:105], v[152:153]
	;; [unrolled: 1-line block ×3, first 2 shown]
	v_lshrrev_b32_e32 v127, 6, v127
	v_mul_u32_u24_e32 v127, 0x258, v127
	v_sub_u32_e32 v143, v124, v127
	v_mad_u64_u32 v[141:142], s[4:5], s2, v143, 0
	v_fma_f64 v[129:130], v[133:134], -0.5, v[129:130]
	v_fma_f64 v[133:134], v[78:79], 0.5, v[116:117]
	v_add_f64 v[122:123], v[122:123], v[146:147]
	v_add_f64 v[135:136], v[106:107], v[131:132]
	;; [unrolled: 1-line block ×4, first 2 shown]
	v_add_f64 v[106:107], v[0:1], -v[137:138]
	v_add_f64 v[131:132], v[0:1], v[137:138]
	v_mov_b32_e32 v0, v142
	v_mad_u64_u32 v[0:1], s[4:5], s3, v143, v[0:1]
	v_add_f64 v[80:81], v[98:99], -v[125:126]
	v_add_f64 v[127:128], v[98:99], v[125:126]
	v_add_u32_e32 v98, 0x258, v143
	v_add_f64 v[78:79], v[139:140], -v[129:130]
	v_add_f64 v[104:105], v[64:65], -v[133:134]
	v_add_f64 v[125:126], v[139:140], v[129:130]
	v_add_f64 v[129:130], v[64:65], v[133:134]
	v_mov_b32_e32 v142, v0
	v_lshlrev_b64 v[0:1], 4, v[108:109]
	v_mad_u64_u32 v[64:65], s[4:5], s2, v98, 0
	v_add_f64 v[116:117], v[122:123], -v[135:136]
	v_add_f64 v[114:115], v[6:7], -v[118:119]
	v_add_f64 v[135:136], v[122:123], v[135:136]
	v_add_f64 v[133:134], v[6:7], v[118:119]
	v_mov_b32_e32 v6, s11
	v_add_co_u32_e32 v7, vcc, s10, v0
	v_addc_co_u32_e32 v6, vcc, v6, v1, vcc
	v_lshlrev_b64 v[0:1], 4, v[120:121]
	v_mad_u64_u32 v[98:99], s[4:5], s3, v98, v[65:66]
	v_add_co_u32_e32 v0, vcc, v7, v0
	v_add_u32_e32 v99, 0x4b0, v143
	v_addc_co_u32_e32 v1, vcc, v6, v1, vcc
	v_lshlrev_b64 v[6:7], 4, v[141:142]
	v_mad_u64_u32 v[108:109], s[4:5], s2, v99, 0
	v_add_co_u32_e32 v6, vcc, v0, v6
	v_addc_co_u32_e32 v7, vcc, v1, v7, vcc
	v_mov_b32_e32 v65, v98
	global_store_dwordx4 v[6:7], v[133:136], off
	v_lshlrev_b64 v[6:7], 4, v[64:65]
	v_mov_b32_e32 v64, v109
	v_mad_u64_u32 v[64:65], s[4:5], s3, v99, v[64:65]
	v_add_u32_e32 v98, 0x708, v143
	v_add_co_u32_e32 v6, vcc, v0, v6
	v_mov_b32_e32 v109, v64
	v_mad_u64_u32 v[64:65], s[4:5], s2, v98, 0
	v_addc_co_u32_e32 v7, vcc, v1, v7, vcc
	v_mad_u64_u32 v[98:99], s[4:5], s3, v98, v[65:66]
	v_add_u32_e32 v99, 0x960, v143
	global_store_dwordx4 v[6:7], v[129:132], off
	v_lshlrev_b64 v[6:7], 4, v[108:109]
	v_mad_u64_u32 v[108:109], s[4:5], s2, v99, 0
	v_add_co_u32_e32 v6, vcc, v0, v6
	v_addc_co_u32_e32 v7, vcc, v1, v7, vcc
	v_mov_b32_e32 v65, v98
	global_store_dwordx4 v[6:7], v[125:128], off
	v_lshlrev_b64 v[6:7], 4, v[64:65]
	v_mov_b32_e32 v64, v109
	v_mad_u64_u32 v[64:65], s[4:5], s3, v99, v[64:65]
	v_add_co_u32_e32 v6, vcc, v0, v6
	v_addc_co_u32_e32 v7, vcc, v1, v7, vcc
	v_mov_b32_e32 v109, v64
	global_store_dwordx4 v[6:7], v[114:117], off
	v_lshlrev_b64 v[6:7], 4, v[108:109]
	v_add_u32_e32 v98, 0xbb8, v143
	v_add_u32_e32 v108, 0x78, v124
	v_mad_u64_u32 v[64:65], s[4:5], s2, v98, 0
	v_mul_hi_u32 v109, v108, s0
	v_add_co_u32_e32 v6, vcc, v0, v6
	v_mad_u64_u32 v[98:99], s[4:5], s3, v98, v[65:66]
	v_lshrrev_b32_e32 v65, 6, v109
	v_mul_u32_u24_e32 v99, 0x258, v65
	v_sub_u32_e32 v99, v108, v99
	v_mad_u32_u24 v99, v65, s1, v99
	v_mad_u64_u32 v[108:109], s[4:5], s2, v99, 0
	v_addc_co_u32_e32 v7, vcc, v1, v7, vcc
	v_mov_b32_e32 v65, v98
	global_store_dwordx4 v[6:7], v[104:107], off
	v_lshlrev_b64 v[6:7], 4, v[64:65]
	v_mov_b32_e32 v64, v109
	v_mad_u64_u32 v[64:65], s[4:5], s3, v99, v[64:65]
	v_add_co_u32_e32 v6, vcc, v0, v6
	v_addc_co_u32_e32 v7, vcc, v1, v7, vcc
	global_store_dwordx4 v[6:7], v[78:81], off
	v_mov_b32_e32 v109, v64
	v_add_u32_e32 v78, 0x258, v99
	v_mad_u64_u32 v[64:65], s[4:5], s2, v78, 0
	v_lshlrev_b64 v[6:7], 4, v[108:109]
	v_add_u32_e32 v81, 0x4b0, v99
	v_mad_u64_u32 v[78:79], s[4:5], s3, v78, v[65:66]
	v_add_co_u32_e32 v6, vcc, v0, v6
	v_addc_co_u32_e32 v7, vcc, v1, v7, vcc
	v_mad_u64_u32 v[79:80], s[4:5], s2, v81, 0
	v_mov_b32_e32 v65, v78
	global_store_dwordx4 v[6:7], v[74:77], off
	v_lshlrev_b64 v[6:7], 4, v[64:65]
	v_mov_b32_e32 v64, v80
	v_add_co_u32_e32 v6, vcc, v0, v6
	v_addc_co_u32_e32 v7, vcc, v1, v7, vcc
	v_mad_u64_u32 v[64:65], s[4:5], s3, v81, v[64:65]
	global_store_dwordx4 v[6:7], v[16:19], off
	v_mov_b32_e32 v80, v64
	v_add_u32_e32 v18, 0x708, v99
	v_mad_u64_u32 v[16:17], s[4:5], s2, v18, 0
	v_lshlrev_b64 v[6:7], 4, v[79:80]
	v_add_u32_e32 v64, 0x960, v99
	v_mad_u64_u32 v[17:18], s[4:5], s3, v18, v[17:18]
	v_mad_u64_u32 v[18:19], s[4:5], s2, v64, 0
	v_add_co_u32_e32 v6, vcc, v0, v6
	v_addc_co_u32_e32 v7, vcc, v1, v7, vcc
	global_store_dwordx4 v[6:7], v[12:15], off
	v_lshlrev_b64 v[6:7], 4, v[16:17]
	v_mov_b32_e32 v12, v19
	v_mad_u64_u32 v[12:13], s[4:5], s3, v64, v[12:13]
	v_add_co_u32_e32 v6, vcc, v0, v6
	v_addc_co_u32_e32 v7, vcc, v1, v7, vcc
	global_store_dwordx4 v[6:7], v[2:5], off
	v_add_u32_e32 v6, 0xbb8, v99
	v_mad_u64_u32 v[4:5], s[4:5], s2, v6, 0
	v_add_u32_e32 v7, 0xf0, v124
	v_mov_b32_e32 v19, v12
	v_mul_hi_u32 v12, v7, s0
	v_mad_u64_u32 v[5:6], s[4:5], s3, v6, v[5:6]
	v_lshlrev_b64 v[2:3], 4, v[18:19]
	v_lshrrev_b32_e32 v6, 6, v12
	v_mul_u32_u24_e32 v12, 0x258, v6
	v_sub_u32_e32 v7, v7, v12
	v_mad_u32_u24 v12, v6, s1, v7
	v_mad_u64_u32 v[6:7], s[4:5], s2, v12, 0
	v_add_co_u32_e32 v2, vcc, v0, v2
	v_addc_co_u32_e32 v3, vcc, v1, v3, vcc
	global_store_dwordx4 v[2:3], v[8:11], off
	v_lshlrev_b64 v[2:3], 4, v[4:5]
	v_mov_b32_e32 v4, v7
	v_mad_u64_u32 v[4:5], s[4:5], s3, v12, v[4:5]
	v_add_co_u32_e32 v2, vcc, v0, v2
	v_addc_co_u32_e32 v3, vcc, v1, v3, vcc
	v_mov_b32_e32 v7, v4
	global_store_dwordx4 v[2:3], v[110:113], off
	v_lshlrev_b64 v[2:3], 4, v[6:7]
	v_add_u32_e32 v6, 0x258, v12
	v_mad_u64_u32 v[4:5], s[4:5], s2, v6, 0
	v_add_u32_e32 v8, 0x4b0, v12
	v_add_co_u32_e32 v2, vcc, v0, v2
	v_mad_u64_u32 v[5:6], s[4:5], s3, v6, v[5:6]
	v_mad_u64_u32 v[6:7], s[4:5], s2, v8, 0
	v_addc_co_u32_e32 v3, vcc, v1, v3, vcc
	global_store_dwordx4 v[2:3], v[100:103], off
	v_lshlrev_b64 v[2:3], 4, v[4:5]
	v_mov_b32_e32 v4, v7
	v_mad_u64_u32 v[4:5], s[4:5], s3, v8, v[4:5]
	v_add_co_u32_e32 v2, vcc, v0, v2
	v_addc_co_u32_e32 v3, vcc, v1, v3, vcc
	v_mov_b32_e32 v7, v4
	global_store_dwordx4 v[2:3], v[36:39], off
	v_lshlrev_b64 v[2:3], 4, v[6:7]
	v_add_u32_e32 v6, 0x708, v12
	v_mad_u64_u32 v[4:5], s[4:5], s2, v6, 0
	v_add_u32_e32 v8, 0x960, v12
	v_add_co_u32_e32 v2, vcc, v0, v2
	v_mad_u64_u32 v[5:6], s[4:5], s3, v6, v[5:6]
	v_mad_u64_u32 v[6:7], s[4:5], s2, v8, 0
	v_addc_co_u32_e32 v3, vcc, v1, v3, vcc
	global_store_dwordx4 v[2:3], v[32:35], off
	v_lshlrev_b64 v[2:3], 4, v[4:5]
	v_mov_b32_e32 v4, v7
	v_mad_u64_u32 v[4:5], s[4:5], s3, v8, v[4:5]
	v_add_co_u32_e32 v2, vcc, v0, v2
	v_addc_co_u32_e32 v3, vcc, v1, v3, vcc
	v_mov_b32_e32 v7, v4
	global_store_dwordx4 v[2:3], v[94:97], off
	v_lshlrev_b64 v[2:3], 4, v[6:7]
	v_add_u32_e32 v6, 0xbb8, v12
	v_mad_u64_u32 v[4:5], s[4:5], s2, v6, 0
	v_add_u32_e32 v7, 0x168, v124
	v_mul_hi_u32 v8, v7, s0
	v_mad_u64_u32 v[5:6], s[4:5], s3, v6, v[5:6]
	v_add_co_u32_e32 v2, vcc, v0, v2
	v_lshrrev_b32_e32 v6, 6, v8
	v_mul_u32_u24_e32 v8, 0x258, v6
	v_sub_u32_e32 v7, v7, v8
	v_mad_u32_u24 v8, v6, s1, v7
	v_mad_u64_u32 v[6:7], s[4:5], s2, v8, 0
	v_addc_co_u32_e32 v3, vcc, v1, v3, vcc
	global_store_dwordx4 v[2:3], v[90:93], off
	v_lshlrev_b64 v[2:3], 4, v[4:5]
	v_mov_b32_e32 v4, v7
	v_mad_u64_u32 v[4:5], s[4:5], s3, v8, v[4:5]
	v_add_co_u32_e32 v2, vcc, v0, v2
	v_addc_co_u32_e32 v3, vcc, v1, v3, vcc
	v_mov_b32_e32 v7, v4
	global_store_dwordx4 v[2:3], v[86:89], off
	v_lshlrev_b64 v[2:3], 4, v[6:7]
	v_add_u32_e32 v6, 0x258, v8
	v_mad_u64_u32 v[4:5], s[4:5], s2, v6, 0
	v_add_u32_e32 v9, 0x4b0, v8
	v_add_co_u32_e32 v2, vcc, v0, v2
	v_mad_u64_u32 v[5:6], s[4:5], s3, v6, v[5:6]
	v_mad_u64_u32 v[6:7], s[4:5], s2, v9, 0
	v_addc_co_u32_e32 v3, vcc, v1, v3, vcc
	global_store_dwordx4 v[2:3], v[82:85], off
	v_lshlrev_b64 v[2:3], 4, v[4:5]
	v_mov_b32_e32 v4, v7
	v_mad_u64_u32 v[4:5], s[4:5], s3, v9, v[4:5]
	v_add_co_u32_e32 v2, vcc, v0, v2
	v_addc_co_u32_e32 v3, vcc, v1, v3, vcc
	v_mov_b32_e32 v7, v4
	global_store_dwordx4 v[2:3], v[70:73], off
	v_lshlrev_b64 v[2:3], 4, v[6:7]
	v_add_u32_e32 v6, 0x708, v8
	v_mad_u64_u32 v[4:5], s[4:5], s2, v6, 0
	v_add_u32_e32 v9, 0x960, v8
	v_add_co_u32_e32 v2, vcc, v0, v2
	v_mad_u64_u32 v[5:6], s[4:5], s3, v6, v[5:6]
	v_mad_u64_u32 v[6:7], s[4:5], s2, v9, 0
	v_addc_co_u32_e32 v3, vcc, v1, v3, vcc
	global_store_dwordx4 v[2:3], v[60:63], off
	v_lshlrev_b64 v[2:3], 4, v[4:5]
	v_mov_b32_e32 v4, v7
	v_mad_u64_u32 v[4:5], s[4:5], s3, v9, v[4:5]
	v_add_co_u32_e32 v2, vcc, v0, v2
	v_addc_co_u32_e32 v3, vcc, v1, v3, vcc
	v_mov_b32_e32 v7, v4
	global_store_dwordx4 v[2:3], v[66:69], off
	v_lshlrev_b64 v[2:3], 4, v[6:7]
	v_add_u32_e32 v6, 0xbb8, v8
	v_mad_u64_u32 v[4:5], s[4:5], s2, v6, 0
	v_add_co_u32_e32 v2, vcc, v0, v2
	v_mad_u64_u32 v[5:6], s[4:5], s3, v6, v[5:6]
	v_add_u32_e32 v6, 0x1e0, v124
	v_mul_hi_u32 v7, v6, s0
	v_addc_co_u32_e32 v3, vcc, v1, v3, vcc
	global_store_dwordx4 v[2:3], v[56:59], off
	v_lshlrev_b64 v[2:3], 4, v[4:5]
	v_lshrrev_b32_e32 v4, 6, v7
	v_mul_u32_u24_e32 v5, 0x258, v4
	v_sub_u32_e32 v5, v6, v5
	v_mad_u32_u24 v8, v4, s1, v5
	v_mad_u64_u32 v[4:5], s[0:1], s2, v8, 0
	v_add_u32_e32 v9, 0x258, v8
	v_add_co_u32_e32 v2, vcc, v0, v2
	v_mad_u64_u32 v[5:6], s[0:1], s3, v8, v[5:6]
	v_mad_u64_u32 v[6:7], s[0:1], s2, v9, 0
	v_addc_co_u32_e32 v3, vcc, v1, v3, vcc
	global_store_dwordx4 v[2:3], v[52:55], off
	v_lshlrev_b64 v[2:3], 4, v[4:5]
	v_mov_b32_e32 v4, v7
	v_mad_u64_u32 v[4:5], s[0:1], s3, v9, v[4:5]
	v_add_co_u32_e32 v2, vcc, v0, v2
	v_addc_co_u32_e32 v3, vcc, v1, v3, vcc
	v_mov_b32_e32 v7, v4
	global_store_dwordx4 v[2:3], v[48:51], off
	v_lshlrev_b64 v[2:3], 4, v[6:7]
	v_add_u32_e32 v6, 0x4b0, v8
	v_mad_u64_u32 v[4:5], s[0:1], s2, v6, 0
	v_add_u32_e32 v9, 0x708, v8
	v_add_co_u32_e32 v2, vcc, v0, v2
	v_mad_u64_u32 v[5:6], s[0:1], s3, v6, v[5:6]
	v_mad_u64_u32 v[6:7], s[0:1], s2, v9, 0
	v_addc_co_u32_e32 v3, vcc, v1, v3, vcc
	global_store_dwordx4 v[2:3], v[44:47], off
	v_lshlrev_b64 v[2:3], 4, v[4:5]
	v_mov_b32_e32 v4, v7
	v_mad_u64_u32 v[4:5], s[0:1], s3, v9, v[4:5]
	v_add_co_u32_e32 v2, vcc, v0, v2
	v_addc_co_u32_e32 v3, vcc, v1, v3, vcc
	v_mov_b32_e32 v7, v4
	global_store_dwordx4 v[2:3], v[40:43], off
	v_lshlrev_b64 v[2:3], 4, v[6:7]
	v_add_u32_e32 v6, 0x960, v8
	v_mad_u64_u32 v[4:5], s[0:1], s2, v6, 0
	v_add_u32_e32 v8, 0xbb8, v8
	v_add_co_u32_e32 v2, vcc, v0, v2
	v_mad_u64_u32 v[5:6], s[0:1], s3, v6, v[5:6]
	v_mad_u64_u32 v[6:7], s[0:1], s2, v8, 0
	v_addc_co_u32_e32 v3, vcc, v1, v3, vcc
	global_store_dwordx4 v[2:3], v[28:31], off
	v_lshlrev_b64 v[2:3], 4, v[4:5]
	v_mov_b32_e32 v4, v7
	v_mad_u64_u32 v[4:5], s[0:1], s3, v8, v[4:5]
	v_add_co_u32_e32 v2, vcc, v0, v2
	v_addc_co_u32_e32 v3, vcc, v1, v3, vcc
	v_mov_b32_e32 v7, v4
	global_store_dwordx4 v[2:3], v[24:27], off
	v_lshlrev_b64 v[2:3], 4, v[6:7]
	v_add_co_u32_e32 v0, vcc, v0, v2
	v_addc_co_u32_e32 v1, vcc, v1, v3, vcc
	global_store_dwordx4 v[0:1], v[20:23], off
.LBB0_15:
	s_endpgm
	.section	.rodata,"a",@progbits
	.p2align	6, 0x0
	.amdhsa_kernel fft_rtc_back_len3600_factors_10_10_6_6_wgs_120_tpt_120_halfLds_dp_op_CI_CI_sbrr_dirReg
		.amdhsa_group_segment_fixed_size 0
		.amdhsa_private_segment_fixed_size 0
		.amdhsa_kernarg_size 104
		.amdhsa_user_sgpr_count 6
		.amdhsa_user_sgpr_private_segment_buffer 1
		.amdhsa_user_sgpr_dispatch_ptr 0
		.amdhsa_user_sgpr_queue_ptr 0
		.amdhsa_user_sgpr_kernarg_segment_ptr 1
		.amdhsa_user_sgpr_dispatch_id 0
		.amdhsa_user_sgpr_flat_scratch_init 0
		.amdhsa_user_sgpr_private_segment_size 0
		.amdhsa_uses_dynamic_stack 0
		.amdhsa_system_sgpr_private_segment_wavefront_offset 0
		.amdhsa_system_sgpr_workgroup_id_x 1
		.amdhsa_system_sgpr_workgroup_id_y 0
		.amdhsa_system_sgpr_workgroup_id_z 0
		.amdhsa_system_sgpr_workgroup_info 0
		.amdhsa_system_vgpr_workitem_id 0
		.amdhsa_next_free_vgpr 251
		.amdhsa_next_free_sgpr 32
		.amdhsa_reserve_vcc 1
		.amdhsa_reserve_flat_scratch 0
		.amdhsa_float_round_mode_32 0
		.amdhsa_float_round_mode_16_64 0
		.amdhsa_float_denorm_mode_32 3
		.amdhsa_float_denorm_mode_16_64 3
		.amdhsa_dx10_clamp 1
		.amdhsa_ieee_mode 1
		.amdhsa_fp16_overflow 0
		.amdhsa_exception_fp_ieee_invalid_op 0
		.amdhsa_exception_fp_denorm_src 0
		.amdhsa_exception_fp_ieee_div_zero 0
		.amdhsa_exception_fp_ieee_overflow 0
		.amdhsa_exception_fp_ieee_underflow 0
		.amdhsa_exception_fp_ieee_inexact 0
		.amdhsa_exception_int_div_zero 0
	.end_amdhsa_kernel
	.text
.Lfunc_end0:
	.size	fft_rtc_back_len3600_factors_10_10_6_6_wgs_120_tpt_120_halfLds_dp_op_CI_CI_sbrr_dirReg, .Lfunc_end0-fft_rtc_back_len3600_factors_10_10_6_6_wgs_120_tpt_120_halfLds_dp_op_CI_CI_sbrr_dirReg
                                        ; -- End function
	.section	.AMDGPU.csdata,"",@progbits
; Kernel info:
; codeLenInByte = 22264
; NumSgprs: 36
; NumVgprs: 251
; ScratchSize: 0
; MemoryBound: 1
; FloatMode: 240
; IeeeMode: 1
; LDSByteSize: 0 bytes/workgroup (compile time only)
; SGPRBlocks: 4
; VGPRBlocks: 62
; NumSGPRsForWavesPerEU: 36
; NumVGPRsForWavesPerEU: 251
; Occupancy: 1
; WaveLimiterHint : 1
; COMPUTE_PGM_RSRC2:SCRATCH_EN: 0
; COMPUTE_PGM_RSRC2:USER_SGPR: 6
; COMPUTE_PGM_RSRC2:TRAP_HANDLER: 0
; COMPUTE_PGM_RSRC2:TGID_X_EN: 1
; COMPUTE_PGM_RSRC2:TGID_Y_EN: 0
; COMPUTE_PGM_RSRC2:TGID_Z_EN: 0
; COMPUTE_PGM_RSRC2:TIDIG_COMP_CNT: 0
	.type	__hip_cuid_bb162d27862911c9,@object ; @__hip_cuid_bb162d27862911c9
	.section	.bss,"aw",@nobits
	.globl	__hip_cuid_bb162d27862911c9
__hip_cuid_bb162d27862911c9:
	.byte	0                               ; 0x0
	.size	__hip_cuid_bb162d27862911c9, 1

	.ident	"AMD clang version 19.0.0git (https://github.com/RadeonOpenCompute/llvm-project roc-6.4.0 25133 c7fe45cf4b819c5991fe208aaa96edf142730f1d)"
	.section	".note.GNU-stack","",@progbits
	.addrsig
	.addrsig_sym __hip_cuid_bb162d27862911c9
	.amdgpu_metadata
---
amdhsa.kernels:
  - .args:
      - .actual_access:  read_only
        .address_space:  global
        .offset:         0
        .size:           8
        .value_kind:     global_buffer
      - .offset:         8
        .size:           8
        .value_kind:     by_value
      - .actual_access:  read_only
        .address_space:  global
        .offset:         16
        .size:           8
        .value_kind:     global_buffer
      - .actual_access:  read_only
        .address_space:  global
        .offset:         24
        .size:           8
        .value_kind:     global_buffer
      - .actual_access:  read_only
        .address_space:  global
        .offset:         32
        .size:           8
        .value_kind:     global_buffer
      - .offset:         40
        .size:           8
        .value_kind:     by_value
      - .actual_access:  read_only
        .address_space:  global
        .offset:         48
        .size:           8
        .value_kind:     global_buffer
      - .actual_access:  read_only
        .address_space:  global
        .offset:         56
        .size:           8
        .value_kind:     global_buffer
      - .offset:         64
        .size:           4
        .value_kind:     by_value
      - .actual_access:  read_only
        .address_space:  global
        .offset:         72
        .size:           8
        .value_kind:     global_buffer
      - .actual_access:  read_only
        .address_space:  global
        .offset:         80
        .size:           8
        .value_kind:     global_buffer
      - .actual_access:  read_only
        .address_space:  global
        .offset:         88
        .size:           8
        .value_kind:     global_buffer
      - .actual_access:  write_only
        .address_space:  global
        .offset:         96
        .size:           8
        .value_kind:     global_buffer
    .group_segment_fixed_size: 0
    .kernarg_segment_align: 8
    .kernarg_segment_size: 104
    .language:       OpenCL C
    .language_version:
      - 2
      - 0
    .max_flat_workgroup_size: 120
    .name:           fft_rtc_back_len3600_factors_10_10_6_6_wgs_120_tpt_120_halfLds_dp_op_CI_CI_sbrr_dirReg
    .private_segment_fixed_size: 0
    .sgpr_count:     36
    .sgpr_spill_count: 0
    .symbol:         fft_rtc_back_len3600_factors_10_10_6_6_wgs_120_tpt_120_halfLds_dp_op_CI_CI_sbrr_dirReg.kd
    .uniform_work_group_size: 1
    .uses_dynamic_stack: false
    .vgpr_count:     251
    .vgpr_spill_count: 0
    .wavefront_size: 64
amdhsa.target:   amdgcn-amd-amdhsa--gfx906
amdhsa.version:
  - 1
  - 2
...

	.end_amdgpu_metadata
